;; amdgpu-corpus repo=zjin-lcf/HeCBench kind=compiled arch=gfx1250 opt=O3
	.amdgcn_target "amdgcn-amd-amdhsa--gfx1250"
	.amdhsa_code_object_version 6
	.section	.text._Z18sequenceMaskKernelIiEviiiPKT_PKiS0_PS0_,"axG",@progbits,_Z18sequenceMaskKernelIiEviiiPKT_PKiS0_PS0_,comdat
	.protected	_Z18sequenceMaskKernelIiEviiiPKT_PKiS0_PS0_ ; -- Begin function _Z18sequenceMaskKernelIiEviiiPKT_PKiS0_PS0_
	.globl	_Z18sequenceMaskKernelIiEviiiPKT_PKiS0_PS0_
	.p2align	8
	.type	_Z18sequenceMaskKernelIiEviiiPKT_PKiS0_PS0_,@function
_Z18sequenceMaskKernelIiEviiiPKT_PKiS0_PS0_: ; @_Z18sequenceMaskKernelIiEviiiPKT_PKiS0_PS0_
; %bb.0:
	s_clause 0x3
	s_load_b32 s11, s[0:1], 0x3c
	s_load_b32 s14, s[0:1], 0x20
	s_load_b64 s[2:3], s[0:1], 0x28
	s_load_b96 s[8:10], s[0:1], 0x0
	s_bfe_u32 s13, ttmp6, 0x4000c
	s_load_b128 s[4:7], s[0:1], 0x10
	s_add_co_i32 s13, s13, 1
	s_and_b32 s12, ttmp6, 15
	s_mul_i32 s13, ttmp9, s13
	s_getreg_b32 s15, hwreg(HW_REG_IB_STS2, 6, 4)
	s_add_co_i32 s12, s12, s13
	s_wait_xcnt 0x0
	s_add_nc_u64 s[0:1], s[0:1], 48
	s_wait_kmcnt 0x0
	s_and_b32 s11, s11, 0xffff
	s_cmp_eq_u32 s15, 0
	s_cselect_b32 s12, ttmp9, s12
	s_cmp_lt_i32 s10, 0
	v_mad_u32 v4, s12, s11, v0
	s_mul_i32 s17, s9, s8
	s_mov_b32 s12, -1
	s_cbranch_scc0 .LBB0_7
; %bb.1:
	s_mov_b32 s15, exec_lo
	s_delay_alu instid0(VALU_DEP_1)
	v_cmpx_gt_i32_e64 s17, v4
	s_cbranch_execz .LBB0_6
; %bb.2:
	s_abs_i32 s16, s9
	s_load_b32 s20, s[0:1], 0x0
	s_cvt_f32_u32 s12, s16
	s_sub_co_i32 s21, 0, s16
	v_dual_mov_b32 v1, 0 :: v_dual_mov_b32 v2, v4
	s_delay_alu instid0(SALU_CYCLE_1) | instskip(SKIP_4) | instid1(TRANS32_DEP_1)
	v_rcp_iflag_f32_e32 v0, s12
	s_mov_b32 s13, 0
	s_ashr_i32 s18, s9, 31
	s_sub_co_i32 s19, 0, s9
	v_nop
	v_readfirstlane_b32 s12, v0
	s_mul_f32 s12, s12, 0x4f7ffffe
	s_wait_kmcnt 0x0
	s_mul_i32 s20, s20, s11
	s_delay_alu instid0(SALU_CYCLE_1) | instskip(NEXT) | instid1(SALU_CYCLE_3)
	s_cvt_u32_f32 s12, s12
	s_mul_i32 s21, s21, s12
	s_delay_alu instid0(SALU_CYCLE_1) | instskip(NEXT) | instid1(SALU_CYCLE_1)
	s_mul_hi_u32 s21, s12, s21
	s_add_co_i32 s12, s12, s21
	s_mov_b32 s21, s13
	s_branch .LBB0_4
.LBB0_3:                                ;   in Loop: Header=BB0_4 Depth=1
	s_wait_xcnt 0x0
	s_or_b32 exec_lo, exec_lo, s22
	v_lshl_add_u64 v[6:7], v[2:3], 2, s[2:3]
	v_add_nc_u32_e32 v2, s20, v2
	s_wait_loadcnt 0x0
	global_store_b32 v[6:7], v0, off
	v_cmp_le_i32_e32 vcc_lo, s17, v2
	s_or_b32 s21, vcc_lo, s21
	s_wait_xcnt 0x0
	s_and_not1_b32 exec_lo, exec_lo, s21
	s_cbranch_execz .LBB0_6
.LBB0_4:                                ; =>This Inner Loop Header: Depth=1
	v_sub_nc_u32_e32 v0, 0, v2
	s_delay_alu instid0(VALU_DEP_1) | instskip(NEXT) | instid1(VALU_DEP_1)
	v_max_i32_e32 v0, v2, v0
	v_mul_u64_e32 v[6:7], s[12:13], v[0:1]
	s_delay_alu instid0(VALU_DEP_1) | instskip(NEXT) | instid1(VALU_DEP_1)
	v_mul_lo_u32 v3, v7, s16
	v_sub_nc_u32_e32 v0, v0, v3
	v_add_nc_u32_e32 v3, 1, v7
	s_delay_alu instid0(VALU_DEP_2) | instskip(NEXT) | instid1(VALU_DEP_2)
	v_cmp_le_u32_e32 vcc_lo, s16, v0
	v_dual_cndmask_b32 v6, v7, v3 :: v_dual_ashrrev_i32 v3, 31, v2
	v_subrev_nc_u32_e32 v5, s16, v0
	s_delay_alu instid0(VALU_DEP_1) | instskip(NEXT) | instid1(VALU_DEP_1)
	v_dual_cndmask_b32 v0, v0, v5 :: v_dual_add_nc_u32 v5, 1, v6
	v_cmp_le_u32_e32 vcc_lo, s16, v0
	s_delay_alu instid0(VALU_DEP_2) | instskip(NEXT) | instid1(VALU_DEP_1)
	v_dual_cndmask_b32 v0, v6, v5, vcc_lo :: v_dual_bitop2_b32 v7, s18, v3 bitop3:0x14
	v_xor_b32_e32 v0, v0, v7
	s_delay_alu instid0(VALU_DEP_1) | instskip(SKIP_4) | instid1(VALU_DEP_1)
	v_sub_nc_u32_e32 v0, v0, v7
	global_load_b32 v5, v0, s[6:7] scale_offset
	s_wait_xcnt 0x0
	v_mad_u32 v0, s19, v0, v2
	s_wait_loadcnt 0x0
	v_cmp_lt_i32_e32 vcc_lo, v0, v5
	v_mov_b32_e32 v0, s14
	s_and_saveexec_b32 s22, vcc_lo
	s_cbranch_execz .LBB0_3
; %bb.5:                                ;   in Loop: Header=BB0_4 Depth=1
	v_lshl_add_u64 v[6:7], v[2:3], 2, s[4:5]
	global_load_b32 v0, v[6:7], off
	s_branch .LBB0_3
.LBB0_6:
	s_or_b32 exec_lo, exec_lo, s15
	s_mov_b32 s12, 0
.LBB0_7:
	s_delay_alu instid0(SALU_CYCLE_1)
	s_and_not1_b32 vcc_lo, exec_lo, s12
	s_cbranch_vccnz .LBB0_13
; %bb.8:
	s_mul_i32 s15, s17, s10
	s_mov_b32 s10, exec_lo
	s_delay_alu instid0(VALU_DEP_1)
	v_cmpx_gt_i32_e64 s15, v4
	s_cbranch_execz .LBB0_13
; %bb.9:
	s_abs_i32 s16, s9
	s_abs_i32 s8, s8
	s_cvt_f32_u32 s10, s16
	s_abs_i32 s17, s17
	s_cvt_f32_u32 s12, s8
	s_cvt_f32_u32 s13, s17
	v_rcp_iflag_f32_e32 v0, s10
	s_load_b32 s19, s[0:1], 0x0
	v_rcp_iflag_f32_e32 v1, s12
	v_rcp_iflag_f32_e32 v2, s13
	s_sub_co_i32 s13, 0, s16
	s_sub_co_i32 s20, 0, s8
	;; [unrolled: 1-line block ×3, first 2 shown]
	s_wait_xcnt 0x0
	v_readfirstlane_b32 s0, v0
	s_mov_b32 s1, 0
	v_readfirstlane_b32 s10, v1
	v_readfirstlane_b32 s12, v2
	v_mov_b32_e32 v1, 0
	s_mul_f32 s0, s0, 0x4f7ffffe
	s_ashr_i32 s18, s9, 31
	s_mul_f32 s10, s10, 0x4f7ffffe
	s_mul_f32 s12, s12, 0x4f7ffffe
	s_cvt_u32_f32 s0, s0
	s_delay_alu instid0(SALU_CYCLE_1) | instskip(NEXT) | instid1(SALU_CYCLE_1)
	s_cvt_u32_f32 s10, s10
	s_cvt_u32_f32 s12, s12
	s_delay_alu instid0(SALU_CYCLE_1)
	s_mul_i32 s13, s13, s0
	s_wait_kmcnt 0x0
	s_mul_i32 s19, s19, s11
	s_mul_i32 s20, s20, s10
	;; [unrolled: 1-line block ×3, first 2 shown]
	s_mul_hi_u32 s11, s0, s13
	s_mul_hi_u32 s13, s10, s20
	s_add_co_i32 s0, s0, s11
	s_add_co_i32 s10, s10, s13
	s_mul_hi_u32 s13, s12, s21
	s_mov_b32 s11, s1
	s_add_co_i32 s12, s12, s13
	s_mov_b32 s13, s1
	s_sub_co_i32 s20, 0, s9
	s_mov_b32 s21, s1
	s_branch .LBB0_11
.LBB0_10:                               ;   in Loop: Header=BB0_11 Depth=1
	s_wait_xcnt 0x0
	s_or_b32 exec_lo, exec_lo, s22
	v_add_nc_u32_e32 v4, s19, v4
	v_lshl_add_u64 v[2:3], v[2:3], 2, s[2:3]
	s_delay_alu instid0(VALU_DEP_2)
	v_cmp_le_i32_e32 vcc_lo, s15, v4
	s_wait_loadcnt 0x0
	global_store_b32 v[2:3], v0, off
	s_or_b32 s21, vcc_lo, s21
	s_wait_xcnt 0x0
	s_and_not1_b32 exec_lo, exec_lo, s21
	s_cbranch_execz .LBB0_13
.LBB0_11:                               ; =>This Inner Loop Header: Depth=1
	v_sub_nc_u32_e32 v0, 0, v4
	s_mov_b32 s22, exec_lo
	s_delay_alu instid0(VALU_DEP_1) | instskip(NEXT) | instid1(VALU_DEP_1)
	v_max_i32_e32 v0, v4, v0
	v_mul_u64_e32 v[2:3], s[0:1], v[0:1]
	s_delay_alu instid0(VALU_DEP_1) | instskip(NEXT) | instid1(VALU_DEP_1)
	v_mul_lo_u32 v2, v3, s16
	v_dual_sub_nc_u32 v0, v0, v2 :: v_dual_add_nc_u32 v2, 1, v3
	s_delay_alu instid0(VALU_DEP_1) | instskip(NEXT) | instid1(VALU_DEP_2)
	v_cmp_le_u32_e32 vcc_lo, s16, v0
	v_dual_cndmask_b32 v2, v3, v2 :: v_dual_ashrrev_i32 v3, 31, v4
	v_subrev_nc_u32_e32 v5, s16, v0
	s_delay_alu instid0(VALU_DEP_1) | instskip(NEXT) | instid1(VALU_DEP_1)
	v_dual_cndmask_b32 v0, v0, v5 :: v_dual_add_nc_u32 v5, 1, v2
	v_cmp_le_u32_e32 vcc_lo, s16, v0
	s_delay_alu instid0(VALU_DEP_2) | instskip(NEXT) | instid1(VALU_DEP_1)
	v_dual_cndmask_b32 v0, v2, v5, vcc_lo :: v_dual_bitop2_b32 v6, s18, v3 bitop3:0x14
	v_xor_b32_e32 v5, v0, v6
	s_delay_alu instid0(VALU_DEP_1) | instskip(NEXT) | instid1(VALU_DEP_1)
	v_sub_nc_u32_e32 v7, v5, v6
	v_sub_nc_u32_e32 v0, 0, v7
	s_delay_alu instid0(VALU_DEP_1) | instskip(NEXT) | instid1(VALU_DEP_1)
	v_max_i32_e32 v0, v7, v0
	v_mul_u64_e32 v[2:3], s[10:11], v[0:1]
	s_delay_alu instid0(VALU_DEP_1) | instskip(NEXT) | instid1(VALU_DEP_1)
	v_mul_lo_u32 v2, v3, s8
	v_dual_ashrrev_i32 v3, 31, v7 :: v_dual_sub_nc_u32 v0, v0, v2
	s_delay_alu instid0(VALU_DEP_1) | instskip(SKIP_1) | instid1(VALU_DEP_2)
	v_subrev_nc_u32_e32 v2, s8, v0
	v_cmp_le_u32_e32 vcc_lo, s8, v0
	v_cndmask_b32_e32 v0, v0, v2, vcc_lo
	s_delay_alu instid0(VALU_DEP_1) | instskip(SKIP_1) | instid1(VALU_DEP_2)
	v_subrev_nc_u32_e32 v2, s8, v0
	v_cmp_le_u32_e32 vcc_lo, s8, v0
	v_cndmask_b32_e32 v0, v0, v2, vcc_lo
	s_delay_alu instid0(VALU_DEP_1) | instskip(NEXT) | instid1(VALU_DEP_1)
	v_xor_b32_e32 v0, v0, v3
	v_dual_sub_nc_u32 v2, v0, v3 :: v_dual_add_nc_u32 v0, v0, v6
	global_load_b32 v8, v2, s[6:7] scale_offset
	v_sub_nc_u32_e32 v0, v0, v5
	s_delay_alu instid0(VALU_DEP_1) | instskip(NEXT) | instid1(VALU_DEP_1)
	v_sub_nc_u32_e32 v0, v0, v3
	v_mad_u32 v0, s9, v0, v4
	s_delay_alu instid0(VALU_DEP_1) | instskip(NEXT) | instid1(VALU_DEP_1)
	v_sub_nc_u32_e32 v5, v4, v0
	v_sub_nc_u32_e32 v0, 0, v5
	s_delay_alu instid0(VALU_DEP_1) | instskip(SKIP_1) | instid1(VALU_DEP_1)
	v_max_i32_e32 v0, v5, v0
	s_wait_xcnt 0x0
	v_mul_u64_e32 v[2:3], s[12:13], v[0:1]
	s_delay_alu instid0(VALU_DEP_1) | instskip(SKIP_2) | instid1(VALU_DEP_3)
	v_mul_lo_u32 v2, v3, s17
	v_ashrrev_i32_e32 v3, 31, v5
	v_mad_u32 v5, s20, v7, v4
	v_sub_nc_u32_e32 v0, v0, v2
	s_delay_alu instid0(VALU_DEP_1) | instskip(SKIP_1) | instid1(VALU_DEP_2)
	v_subrev_nc_u32_e32 v2, s17, v0
	v_cmp_le_u32_e32 vcc_lo, s17, v0
	v_cndmask_b32_e32 v0, v0, v2, vcc_lo
	s_delay_alu instid0(VALU_DEP_1) | instskip(SKIP_1) | instid1(VALU_DEP_2)
	v_subrev_nc_u32_e32 v2, s17, v0
	v_cmp_le_u32_e32 vcc_lo, s17, v0
	v_cndmask_b32_e32 v0, v0, v2, vcc_lo
	s_delay_alu instid0(VALU_DEP_1) | instskip(NEXT) | instid1(VALU_DEP_1)
	v_xor_b32_e32 v0, v0, v3
	v_sub_nc_u32_e32 v0, v3, v0
	s_delay_alu instid0(VALU_DEP_1) | instskip(NEXT) | instid1(VALU_DEP_1)
	v_dual_add_nc_u32 v2, v4, v0 :: v_dual_mov_b32 v0, s14
	v_ashrrev_i32_e32 v3, 31, v2
	s_wait_loadcnt 0x0
	v_cmpx_lt_i32_e64 v5, v8
	s_cbranch_execz .LBB0_10
; %bb.12:                               ;   in Loop: Header=BB0_11 Depth=1
	s_delay_alu instid0(VALU_DEP_2)
	v_lshl_add_u64 v[6:7], v[2:3], 2, s[4:5]
	global_load_b32 v0, v[6:7], off
	s_branch .LBB0_10
.LBB0_13:
	s_endpgm
	.section	.rodata,"a",@progbits
	.p2align	6, 0x0
	.amdhsa_kernel _Z18sequenceMaskKernelIiEviiiPKT_PKiS0_PS0_
		.amdhsa_group_segment_fixed_size 0
		.amdhsa_private_segment_fixed_size 0
		.amdhsa_kernarg_size 304
		.amdhsa_user_sgpr_count 2
		.amdhsa_user_sgpr_dispatch_ptr 0
		.amdhsa_user_sgpr_queue_ptr 0
		.amdhsa_user_sgpr_kernarg_segment_ptr 1
		.amdhsa_user_sgpr_dispatch_id 0
		.amdhsa_user_sgpr_kernarg_preload_length 0
		.amdhsa_user_sgpr_kernarg_preload_offset 0
		.amdhsa_user_sgpr_private_segment_size 0
		.amdhsa_wavefront_size32 1
		.amdhsa_uses_dynamic_stack 0
		.amdhsa_enable_private_segment 0
		.amdhsa_system_sgpr_workgroup_id_x 1
		.amdhsa_system_sgpr_workgroup_id_y 0
		.amdhsa_system_sgpr_workgroup_id_z 0
		.amdhsa_system_sgpr_workgroup_info 0
		.amdhsa_system_vgpr_workitem_id 0
		.amdhsa_next_free_vgpr 9
		.amdhsa_next_free_sgpr 23
		.amdhsa_named_barrier_count 0
		.amdhsa_reserve_vcc 1
		.amdhsa_float_round_mode_32 0
		.amdhsa_float_round_mode_16_64 0
		.amdhsa_float_denorm_mode_32 3
		.amdhsa_float_denorm_mode_16_64 3
		.amdhsa_fp16_overflow 0
		.amdhsa_memory_ordered 1
		.amdhsa_forward_progress 1
		.amdhsa_inst_pref_size 10
		.amdhsa_round_robin_scheduling 0
		.amdhsa_exception_fp_ieee_invalid_op 0
		.amdhsa_exception_fp_denorm_src 0
		.amdhsa_exception_fp_ieee_div_zero 0
		.amdhsa_exception_fp_ieee_overflow 0
		.amdhsa_exception_fp_ieee_underflow 0
		.amdhsa_exception_fp_ieee_inexact 0
		.amdhsa_exception_int_div_zero 0
	.end_amdhsa_kernel
	.section	.text._Z18sequenceMaskKernelIiEviiiPKT_PKiS0_PS0_,"axG",@progbits,_Z18sequenceMaskKernelIiEviiiPKT_PKiS0_PS0_,comdat
.Lfunc_end0:
	.size	_Z18sequenceMaskKernelIiEviiiPKT_PKiS0_PS0_, .Lfunc_end0-_Z18sequenceMaskKernelIiEviiiPKT_PKiS0_PS0_
                                        ; -- End function
	.set _Z18sequenceMaskKernelIiEviiiPKT_PKiS0_PS0_.num_vgpr, 9
	.set _Z18sequenceMaskKernelIiEviiiPKT_PKiS0_PS0_.num_agpr, 0
	.set _Z18sequenceMaskKernelIiEviiiPKT_PKiS0_PS0_.numbered_sgpr, 23
	.set _Z18sequenceMaskKernelIiEviiiPKT_PKiS0_PS0_.num_named_barrier, 0
	.set _Z18sequenceMaskKernelIiEviiiPKT_PKiS0_PS0_.private_seg_size, 0
	.set _Z18sequenceMaskKernelIiEviiiPKT_PKiS0_PS0_.uses_vcc, 1
	.set _Z18sequenceMaskKernelIiEviiiPKT_PKiS0_PS0_.uses_flat_scratch, 0
	.set _Z18sequenceMaskKernelIiEviiiPKT_PKiS0_PS0_.has_dyn_sized_stack, 0
	.set _Z18sequenceMaskKernelIiEviiiPKT_PKiS0_PS0_.has_recursion, 0
	.set _Z18sequenceMaskKernelIiEviiiPKT_PKiS0_PS0_.has_indirect_call, 0
	.section	.AMDGPU.csdata,"",@progbits
; Kernel info:
; codeLenInByte = 1168
; TotalNumSgprs: 25
; NumVgprs: 9
; ScratchSize: 0
; MemoryBound: 0
; FloatMode: 240
; IeeeMode: 1
; LDSByteSize: 0 bytes/workgroup (compile time only)
; SGPRBlocks: 0
; VGPRBlocks: 0
; NumSGPRsForWavesPerEU: 25
; NumVGPRsForWavesPerEU: 9
; NamedBarCnt: 0
; Occupancy: 16
; WaveLimiterHint : 0
; COMPUTE_PGM_RSRC2:SCRATCH_EN: 0
; COMPUTE_PGM_RSRC2:USER_SGPR: 2
; COMPUTE_PGM_RSRC2:TRAP_HANDLER: 0
; COMPUTE_PGM_RSRC2:TGID_X_EN: 1
; COMPUTE_PGM_RSRC2:TGID_Y_EN: 0
; COMPUTE_PGM_RSRC2:TGID_Z_EN: 0
; COMPUTE_PGM_RSRC2:TIDIG_COMP_CNT: 0
	.section	.text._Z16windowMaskKernelIiEviiiPKT_PKiiS0_PS0_,"axG",@progbits,_Z16windowMaskKernelIiEviiiPKT_PKiiS0_PS0_,comdat
	.protected	_Z16windowMaskKernelIiEviiiPKT_PKiiS0_PS0_ ; -- Begin function _Z16windowMaskKernelIiEviiiPKT_PKiiS0_PS0_
	.globl	_Z16windowMaskKernelIiEviiiPKT_PKiiS0_PS0_
	.p2align	8
	.type	_Z16windowMaskKernelIiEviiiPKT_PKiiS0_PS0_,@function
_Z16windowMaskKernelIiEviiiPKT_PKiiS0_PS0_: ; @_Z16windowMaskKernelIiEviiiPKT_PKiiS0_PS0_
; %bb.0:
	s_clause 0x1
	s_load_b32 s2, s[0:1], 0x3c
	s_load_b96 s[12:14], s[0:1], 0x0
	s_bfe_u32 s15, ttmp6, 0x4000c
	s_load_b256 s[4:11], s[0:1], 0x10
	s_add_co_i32 s15, s15, 1
	s_and_b32 s3, ttmp6, 15
	s_mul_i32 s17, ttmp9, s15
	s_getreg_b32 s16, hwreg(HW_REG_IB_STS2, 6, 4)
	s_add_co_i32 s3, s3, s17
	s_wait_kmcnt 0x0
	s_and_b32 s15, s2, 0xffff
	s_cmp_eq_u32 s16, 0
	s_mul_i32 s19, s13, s12
	s_cselect_b32 s2, ttmp9, s3
	s_cmp_lt_i32 s14, 0
	v_mad_u32 v4, s2, s15, v0
	s_add_nc_u64 s[2:3], s[0:1], 48
	s_mov_b32 s0, -1
	s_cbranch_scc0 .LBB1_7
; %bb.1:
	s_mov_b32 s1, exec_lo
	s_delay_alu instid0(VALU_DEP_1)
	v_cmpx_gt_i32_e64 s19, v4
	s_cbranch_execz .LBB1_6
; %bb.2:
	s_abs_i32 s18, s13
	s_load_b32 s22, s[2:3], 0x0
	s_cvt_f32_u32 s0, s18
	s_sub_co_i32 s16, 0, s18
	v_dual_mov_b32 v1, 0 :: v_dual_mov_b32 v2, v4
	s_delay_alu instid0(SALU_CYCLE_1)
	v_rcp_iflag_f32_e32 v0, s0
	s_mov_b32 s17, 0
	s_ashr_i32 s20, s13, 31
	s_sub_co_i32 s21, 0, s13
	s_mov_b32 s23, s17
	v_nop
	s_delay_alu instid0(TRANS32_DEP_1) | instskip(SKIP_3) | instid1(SALU_CYCLE_1)
	v_readfirstlane_b32 s0, v0
	s_mul_f32 s0, s0, 0x4f7ffffe
	s_wait_kmcnt 0x0
	s_mul_i32 s22, s22, s15
	s_cvt_u32_f32 s0, s0
	s_delay_alu instid0(SALU_CYCLE_3) | instskip(NEXT) | instid1(SALU_CYCLE_1)
	s_mul_i32 s16, s16, s0
	s_mul_hi_u32 s16, s0, s16
	s_delay_alu instid0(SALU_CYCLE_1)
	s_add_co_i32 s16, s0, s16
	s_branch .LBB1_4
.LBB1_3:                                ;   in Loop: Header=BB1_4 Depth=1
	s_wait_xcnt 0x0
	s_or_b32 exec_lo, exec_lo, s0
	v_lshl_add_u64 v[6:7], v[2:3], 2, s[10:11]
	v_add_nc_u32_e32 v2, s22, v2
	s_wait_loadcnt 0x0
	global_store_b32 v[6:7], v0, off
	v_cmp_le_i32_e32 vcc_lo, s19, v2
	s_or_b32 s23, vcc_lo, s23
	s_wait_xcnt 0x0
	s_and_not1_b32 exec_lo, exec_lo, s23
	s_cbranch_execz .LBB1_6
.LBB1_4:                                ; =>This Inner Loop Header: Depth=1
	v_sub_nc_u32_e32 v0, 0, v2
	s_delay_alu instid0(VALU_DEP_1) | instskip(NEXT) | instid1(VALU_DEP_1)
	v_max_i32_e32 v0, v2, v0
	v_mul_u64_e32 v[6:7], s[16:17], v[0:1]
	s_delay_alu instid0(VALU_DEP_1) | instskip(NEXT) | instid1(VALU_DEP_1)
	v_mul_lo_u32 v3, v7, s18
	v_sub_nc_u32_e32 v0, v0, v3
	v_add_nc_u32_e32 v3, 1, v7
	s_delay_alu instid0(VALU_DEP_2) | instskip(NEXT) | instid1(VALU_DEP_2)
	v_cmp_le_u32_e32 vcc_lo, s18, v0
	v_dual_cndmask_b32 v6, v7, v3 :: v_dual_ashrrev_i32 v3, 31, v2
	v_subrev_nc_u32_e32 v5, s18, v0
	s_delay_alu instid0(VALU_DEP_1) | instskip(NEXT) | instid1(VALU_DEP_1)
	v_dual_cndmask_b32 v0, v0, v5 :: v_dual_add_nc_u32 v5, 1, v6
	v_cmp_le_u32_e32 vcc_lo, s18, v0
	s_delay_alu instid0(VALU_DEP_2) | instskip(NEXT) | instid1(VALU_DEP_1)
	v_dual_cndmask_b32 v0, v6, v5, vcc_lo :: v_dual_bitop2_b32 v7, s20, v3 bitop3:0x14
	v_xor_b32_e32 v0, v0, v7
	s_delay_alu instid0(VALU_DEP_1)
	v_sub_nc_u32_e32 v0, v0, v7
	global_load_b32 v5, v0, s[6:7] scale_offset
	s_wait_xcnt 0x0
	v_mad_u32 v0, s21, v0, v2
	s_wait_loadcnt 0x0
	v_subrev_nc_u32_e32 v6, s8, v5
	v_add_nc_u32_e32 v5, s8, v5
	s_delay_alu instid0(VALU_DEP_2) | instskip(NEXT) | instid1(VALU_DEP_2)
	v_cmp_ge_i32_e32 vcc_lo, v0, v6
	v_cmp_le_i32_e64 s0, v0, v5
	v_mov_b32_e32 v0, s9
	s_and_b32 s24, vcc_lo, s0
	s_delay_alu instid0(SALU_CYCLE_1)
	s_and_saveexec_b32 s0, s24
	s_cbranch_execz .LBB1_3
; %bb.5:                                ;   in Loop: Header=BB1_4 Depth=1
	v_lshl_add_u64 v[6:7], v[2:3], 2, s[4:5]
	global_load_b32 v0, v[6:7], off
	s_branch .LBB1_3
.LBB1_6:
	s_or_b32 exec_lo, exec_lo, s1
	s_mov_b32 s0, 0
.LBB1_7:
	s_delay_alu instid0(SALU_CYCLE_1)
	s_and_not1_b32 vcc_lo, exec_lo, s0
	s_cbranch_vccnz .LBB1_13
; %bb.8:
	s_mul_i32 s1, s19, s14
	s_mov_b32 s0, exec_lo
	s_delay_alu instid0(VALU_DEP_1)
	v_cmpx_gt_i32_e64 s1, v4
	s_cbranch_execz .LBB1_13
; %bb.9:
	s_abs_i32 s18, s13
	s_abs_i32 s12, s12
	s_cvt_f32_u32 s0, s18
	s_abs_i32 s19, s19
	s_cvt_f32_u32 s14, s12
	s_cvt_f32_u32 s16, s19
	v_rcp_iflag_f32_e32 v0, s0
	s_load_b32 s21, s[2:3], 0x0
	v_rcp_iflag_f32_e32 v1, s14
	v_rcp_iflag_f32_e32 v2, s16
	s_sub_co_i32 s16, 0, s18
	s_sub_co_i32 s17, 0, s12
	;; [unrolled: 1-line block ×3, first 2 shown]
	v_readfirstlane_b32 s0, v0
	s_wait_xcnt 0x0
	s_mov_b32 s3, 0
	v_readfirstlane_b32 s2, v1
	v_readfirstlane_b32 s14, v2
	v_mov_b32_e32 v1, 0
	s_mul_f32 s0, s0, 0x4f7ffffe
	s_ashr_i32 s20, s13, 31
	s_mul_f32 s2, s2, 0x4f7ffffe
	s_mul_f32 s14, s14, 0x4f7ffffe
	s_cvt_u32_f32 s0, s0
	s_delay_alu instid0(SALU_CYCLE_1) | instskip(NEXT) | instid1(SALU_CYCLE_1)
	s_cvt_u32_f32 s23, s2
	s_cvt_u32_f32 s24, s14
	s_delay_alu instid0(SALU_CYCLE_1)
	s_mul_i32 s16, s16, s0
	s_wait_kmcnt 0x0
	s_mul_i32 s21, s21, s15
	s_mul_i32 s17, s17, s23
	;; [unrolled: 1-line block ×3, first 2 shown]
	s_mul_hi_u32 s2, s0, s16
	s_mul_hi_u32 s14, s23, s17
	s_add_co_i32 s2, s0, s2
	s_mul_hi_u32 s0, s24, s22
	s_add_co_i32 s14, s23, s14
	s_mov_b32 s15, s3
	s_add_co_i32 s16, s24, s0
	s_mov_b32 s17, s3
	s_sub_co_i32 s22, 0, s13
	s_mov_b32 s23, s3
	s_branch .LBB1_11
.LBB1_10:                               ;   in Loop: Header=BB1_11 Depth=1
	s_wait_xcnt 0x0
	s_or_b32 exec_lo, exec_lo, s0
	v_add_nc_u32_e32 v4, s21, v4
	v_lshl_add_u64 v[2:3], v[2:3], 2, s[10:11]
	s_delay_alu instid0(VALU_DEP_2)
	v_cmp_le_i32_e32 vcc_lo, s1, v4
	s_wait_loadcnt 0x0
	global_store_b32 v[2:3], v0, off
	s_or_b32 s23, vcc_lo, s23
	s_wait_xcnt 0x0
	s_and_not1_b32 exec_lo, exec_lo, s23
	s_cbranch_execz .LBB1_13
.LBB1_11:                               ; =>This Inner Loop Header: Depth=1
	v_sub_nc_u32_e32 v0, 0, v4
	s_delay_alu instid0(VALU_DEP_1) | instskip(NEXT) | instid1(VALU_DEP_1)
	v_max_i32_e32 v0, v4, v0
	v_mul_u64_e32 v[2:3], s[2:3], v[0:1]
	s_delay_alu instid0(VALU_DEP_1) | instskip(NEXT) | instid1(VALU_DEP_1)
	v_mul_lo_u32 v2, v3, s18
	v_dual_sub_nc_u32 v0, v0, v2 :: v_dual_add_nc_u32 v2, 1, v3
	s_delay_alu instid0(VALU_DEP_1) | instskip(NEXT) | instid1(VALU_DEP_2)
	v_cmp_le_u32_e32 vcc_lo, s18, v0
	v_dual_cndmask_b32 v2, v3, v2 :: v_dual_ashrrev_i32 v3, 31, v4
	v_subrev_nc_u32_e32 v5, s18, v0
	s_delay_alu instid0(VALU_DEP_1) | instskip(NEXT) | instid1(VALU_DEP_1)
	v_dual_cndmask_b32 v0, v0, v5 :: v_dual_add_nc_u32 v5, 1, v2
	v_cmp_le_u32_e32 vcc_lo, s18, v0
	s_delay_alu instid0(VALU_DEP_2) | instskip(NEXT) | instid1(VALU_DEP_1)
	v_dual_cndmask_b32 v0, v2, v5, vcc_lo :: v_dual_bitop2_b32 v6, s20, v3 bitop3:0x14
	v_xor_b32_e32 v5, v0, v6
	s_delay_alu instid0(VALU_DEP_1) | instskip(NEXT) | instid1(VALU_DEP_1)
	v_sub_nc_u32_e32 v7, v5, v6
	v_sub_nc_u32_e32 v0, 0, v7
	s_delay_alu instid0(VALU_DEP_1) | instskip(NEXT) | instid1(VALU_DEP_1)
	v_max_i32_e32 v0, v7, v0
	v_mul_u64_e32 v[2:3], s[14:15], v[0:1]
	s_delay_alu instid0(VALU_DEP_1) | instskip(NEXT) | instid1(VALU_DEP_1)
	v_mul_lo_u32 v2, v3, s12
	v_dual_ashrrev_i32 v3, 31, v7 :: v_dual_sub_nc_u32 v0, v0, v2
	s_delay_alu instid0(VALU_DEP_1) | instskip(SKIP_1) | instid1(VALU_DEP_2)
	v_subrev_nc_u32_e32 v2, s12, v0
	v_cmp_le_u32_e32 vcc_lo, s12, v0
	v_cndmask_b32_e32 v0, v0, v2, vcc_lo
	s_delay_alu instid0(VALU_DEP_1) | instskip(SKIP_1) | instid1(VALU_DEP_2)
	v_subrev_nc_u32_e32 v2, s12, v0
	v_cmp_le_u32_e32 vcc_lo, s12, v0
	v_cndmask_b32_e32 v0, v0, v2, vcc_lo
	s_delay_alu instid0(VALU_DEP_1) | instskip(NEXT) | instid1(VALU_DEP_1)
	v_xor_b32_e32 v0, v0, v3
	v_dual_sub_nc_u32 v2, v0, v3 :: v_dual_add_nc_u32 v0, v0, v6
	global_load_b32 v8, v2, s[6:7] scale_offset
	v_sub_nc_u32_e32 v0, v0, v5
	s_delay_alu instid0(VALU_DEP_1) | instskip(NEXT) | instid1(VALU_DEP_1)
	v_sub_nc_u32_e32 v0, v0, v3
	v_mad_u32 v0, s13, v0, v4
	s_delay_alu instid0(VALU_DEP_1) | instskip(NEXT) | instid1(VALU_DEP_1)
	v_sub_nc_u32_e32 v5, v4, v0
	v_sub_nc_u32_e32 v0, 0, v5
	s_delay_alu instid0(VALU_DEP_1) | instskip(SKIP_1) | instid1(VALU_DEP_1)
	v_max_i32_e32 v0, v5, v0
	s_wait_xcnt 0x0
	v_mul_u64_e32 v[2:3], s[16:17], v[0:1]
	s_delay_alu instid0(VALU_DEP_1) | instskip(SKIP_2) | instid1(VALU_DEP_3)
	v_mul_lo_u32 v2, v3, s19
	v_ashrrev_i32_e32 v3, 31, v5
	v_mad_u32 v5, s22, v7, v4
	v_sub_nc_u32_e32 v0, v0, v2
	s_delay_alu instid0(VALU_DEP_1) | instskip(SKIP_1) | instid1(VALU_DEP_2)
	v_subrev_nc_u32_e32 v2, s19, v0
	v_cmp_le_u32_e32 vcc_lo, s19, v0
	v_cndmask_b32_e32 v0, v0, v2, vcc_lo
	s_delay_alu instid0(VALU_DEP_1) | instskip(SKIP_1) | instid1(VALU_DEP_2)
	v_subrev_nc_u32_e32 v2, s19, v0
	v_cmp_le_u32_e32 vcc_lo, s19, v0
	v_cndmask_b32_e32 v0, v0, v2, vcc_lo
	s_delay_alu instid0(VALU_DEP_1) | instskip(NEXT) | instid1(VALU_DEP_1)
	v_xor_b32_e32 v0, v0, v3
	v_sub_nc_u32_e32 v0, v3, v0
	s_delay_alu instid0(VALU_DEP_1) | instskip(SKIP_3) | instid1(VALU_DEP_2)
	v_dual_add_nc_u32 v2, v4, v0 :: v_dual_mov_b32 v0, s9
	s_wait_loadcnt 0x0
	v_subrev_nc_u32_e32 v3, s8, v8
	v_add_nc_u32_e32 v6, s8, v8
	v_cmp_ge_i32_e32 vcc_lo, v5, v3
	s_delay_alu instid0(VALU_DEP_2) | instskip(SKIP_2) | instid1(SALU_CYCLE_1)
	v_cmp_le_i32_e64 s0, v5, v6
	v_ashrrev_i32_e32 v3, 31, v2
	s_and_b32 s24, vcc_lo, s0
	s_and_saveexec_b32 s0, s24
	s_cbranch_execz .LBB1_10
; %bb.12:                               ;   in Loop: Header=BB1_11 Depth=1
	s_delay_alu instid0(VALU_DEP_1)
	v_lshl_add_u64 v[6:7], v[2:3], 2, s[4:5]
	global_load_b32 v0, v[6:7], off
	s_branch .LBB1_10
.LBB1_13:
	s_endpgm
	.section	.rodata,"a",@progbits
	.p2align	6, 0x0
	.amdhsa_kernel _Z16windowMaskKernelIiEviiiPKT_PKiiS0_PS0_
		.amdhsa_group_segment_fixed_size 0
		.amdhsa_private_segment_fixed_size 0
		.amdhsa_kernarg_size 304
		.amdhsa_user_sgpr_count 2
		.amdhsa_user_sgpr_dispatch_ptr 0
		.amdhsa_user_sgpr_queue_ptr 0
		.amdhsa_user_sgpr_kernarg_segment_ptr 1
		.amdhsa_user_sgpr_dispatch_id 0
		.amdhsa_user_sgpr_kernarg_preload_length 0
		.amdhsa_user_sgpr_kernarg_preload_offset 0
		.amdhsa_user_sgpr_private_segment_size 0
		.amdhsa_wavefront_size32 1
		.amdhsa_uses_dynamic_stack 0
		.amdhsa_enable_private_segment 0
		.amdhsa_system_sgpr_workgroup_id_x 1
		.amdhsa_system_sgpr_workgroup_id_y 0
		.amdhsa_system_sgpr_workgroup_id_z 0
		.amdhsa_system_sgpr_workgroup_info 0
		.amdhsa_system_vgpr_workitem_id 0
		.amdhsa_next_free_vgpr 9
		.amdhsa_next_free_sgpr 25
		.amdhsa_named_barrier_count 0
		.amdhsa_reserve_vcc 1
		.amdhsa_float_round_mode_32 0
		.amdhsa_float_round_mode_16_64 0
		.amdhsa_float_denorm_mode_32 3
		.amdhsa_float_denorm_mode_16_64 3
		.amdhsa_fp16_overflow 0
		.amdhsa_memory_ordered 1
		.amdhsa_forward_progress 1
		.amdhsa_inst_pref_size 10
		.amdhsa_round_robin_scheduling 0
		.amdhsa_exception_fp_ieee_invalid_op 0
		.amdhsa_exception_fp_denorm_src 0
		.amdhsa_exception_fp_ieee_div_zero 0
		.amdhsa_exception_fp_ieee_overflow 0
		.amdhsa_exception_fp_ieee_underflow 0
		.amdhsa_exception_fp_ieee_inexact 0
		.amdhsa_exception_int_div_zero 0
	.end_amdhsa_kernel
	.section	.text._Z16windowMaskKernelIiEviiiPKT_PKiiS0_PS0_,"axG",@progbits,_Z16windowMaskKernelIiEviiiPKT_PKiiS0_PS0_,comdat
.Lfunc_end1:
	.size	_Z16windowMaskKernelIiEviiiPKT_PKiiS0_PS0_, .Lfunc_end1-_Z16windowMaskKernelIiEviiiPKT_PKiiS0_PS0_
                                        ; -- End function
	.set _Z16windowMaskKernelIiEviiiPKT_PKiiS0_PS0_.num_vgpr, 9
	.set _Z16windowMaskKernelIiEviiiPKT_PKiiS0_PS0_.num_agpr, 0
	.set _Z16windowMaskKernelIiEviiiPKT_PKiiS0_PS0_.numbered_sgpr, 25
	.set _Z16windowMaskKernelIiEviiiPKT_PKiiS0_PS0_.num_named_barrier, 0
	.set _Z16windowMaskKernelIiEviiiPKT_PKiiS0_PS0_.private_seg_size, 0
	.set _Z16windowMaskKernelIiEviiiPKT_PKiiS0_PS0_.uses_vcc, 1
	.set _Z16windowMaskKernelIiEviiiPKT_PKiiS0_PS0_.uses_flat_scratch, 0
	.set _Z16windowMaskKernelIiEviiiPKT_PKiiS0_PS0_.has_dyn_sized_stack, 0
	.set _Z16windowMaskKernelIiEviiiPKT_PKiiS0_PS0_.has_recursion, 0
	.set _Z16windowMaskKernelIiEviiiPKT_PKiiS0_PS0_.has_indirect_call, 0
	.section	.AMDGPU.csdata,"",@progbits
; Kernel info:
; codeLenInByte = 1200
; TotalNumSgprs: 27
; NumVgprs: 9
; ScratchSize: 0
; MemoryBound: 0
; FloatMode: 240
; IeeeMode: 1
; LDSByteSize: 0 bytes/workgroup (compile time only)
; SGPRBlocks: 0
; VGPRBlocks: 0
; NumSGPRsForWavesPerEU: 27
; NumVGPRsForWavesPerEU: 9
; NamedBarCnt: 0
; Occupancy: 16
; WaveLimiterHint : 0
; COMPUTE_PGM_RSRC2:SCRATCH_EN: 0
; COMPUTE_PGM_RSRC2:USER_SGPR: 2
; COMPUTE_PGM_RSRC2:TRAP_HANDLER: 0
; COMPUTE_PGM_RSRC2:TGID_X_EN: 1
; COMPUTE_PGM_RSRC2:TGID_Y_EN: 0
; COMPUTE_PGM_RSRC2:TGID_Z_EN: 0
; COMPUTE_PGM_RSRC2:TIDIG_COMP_CNT: 0
	.section	.text._Z15upperMaskKernelIiEviiiPKT_S0_PS0_,"axG",@progbits,_Z15upperMaskKernelIiEviiiPKT_S0_PS0_,comdat
	.protected	_Z15upperMaskKernelIiEviiiPKT_S0_PS0_ ; -- Begin function _Z15upperMaskKernelIiEviiiPKT_S0_PS0_
	.globl	_Z15upperMaskKernelIiEviiiPKT_S0_PS0_
	.p2align	8
	.type	_Z15upperMaskKernelIiEviiiPKT_S0_PS0_,@function
_Z15upperMaskKernelIiEviiiPKT_S0_PS0_:  ; @_Z15upperMaskKernelIiEviiiPKT_S0_PS0_
; %bb.0:
	s_clause 0x2
	s_load_b32 s7, s[0:1], 0x34
	s_load_b64 s[2:3], s[0:1], 0x20
	s_load_b96 s[4:6], s[0:1], 0x0
	s_bfe_u32 s12, ttmp6, 0x4000c
	s_load_b96 s[8:10], s[0:1], 0x10
	s_add_co_i32 s12, s12, 1
	s_and_b32 s11, ttmp6, 15
	s_mul_i32 s12, ttmp9, s12
	s_getreg_b32 s13, hwreg(HW_REG_IB_STS2, 6, 4)
	s_add_co_i32 s11, s11, s12
	s_wait_xcnt 0x0
	s_add_nc_u64 s[0:1], s[0:1], 40
	s_wait_kmcnt 0x0
	s_and_b32 s7, s7, 0xffff
	s_cmp_eq_u32 s13, 0
	s_mul_i32 s15, s5, s4
	s_cselect_b32 s11, ttmp9, s11
	s_cmp_lt_i32 s6, 0
	v_mad_u32 v4, s11, s7, v0
	s_mov_b32 s11, -1
	s_cbranch_scc0 .LBB2_7
; %bb.1:
	s_mov_b32 s11, exec_lo
	s_delay_alu instid0(VALU_DEP_1)
	v_cmpx_gt_i32_e64 s15, v4
	s_cbranch_execz .LBB2_6
; %bb.2:
	s_abs_i32 s14, s5
	s_load_b32 s18, s[0:1], 0x0
	s_cvt_f32_u32 s12, s14
	s_sub_co_i32 s19, 0, s14
	v_dual_mov_b32 v1, 0 :: v_dual_mov_b32 v2, v4
	s_delay_alu instid0(SALU_CYCLE_1) | instskip(SKIP_4) | instid1(TRANS32_DEP_1)
	v_rcp_iflag_f32_e32 v0, s12
	s_mov_b32 s13, 0
	s_ashr_i32 s16, s5, 31
	s_sub_co_i32 s17, 0, s5
	v_nop
	v_readfirstlane_b32 s12, v0
	s_mul_f32 s12, s12, 0x4f7ffffe
	s_wait_kmcnt 0x0
	s_mul_i32 s18, s18, s7
	s_delay_alu instid0(SALU_CYCLE_1) | instskip(NEXT) | instid1(SALU_CYCLE_3)
	s_cvt_u32_f32 s12, s12
	s_mul_i32 s19, s19, s12
	s_delay_alu instid0(SALU_CYCLE_1) | instskip(NEXT) | instid1(SALU_CYCLE_1)
	s_mul_hi_u32 s19, s12, s19
	s_add_co_i32 s12, s12, s19
	s_mov_b32 s19, s13
	s_branch .LBB2_4
.LBB2_3:                                ;   in Loop: Header=BB2_4 Depth=1
	s_wait_xcnt 0x0
	s_or_b32 exec_lo, exec_lo, s20
	v_lshl_add_u64 v[6:7], v[2:3], 2, s[2:3]
	v_add_nc_u32_e32 v2, s18, v2
	s_wait_loadcnt 0x0
	global_store_b32 v[6:7], v0, off
	v_cmp_le_i32_e32 vcc_lo, s15, v2
	s_or_b32 s19, vcc_lo, s19
	s_wait_xcnt 0x0
	s_and_not1_b32 exec_lo, exec_lo, s19
	s_cbranch_execz .LBB2_6
.LBB2_4:                                ; =>This Inner Loop Header: Depth=1
	v_sub_nc_u32_e32 v0, 0, v2
	s_delay_alu instid0(VALU_DEP_1) | instskip(NEXT) | instid1(VALU_DEP_1)
	v_max_i32_e32 v0, v2, v0
	v_mul_u64_e32 v[6:7], s[12:13], v[0:1]
	s_delay_alu instid0(VALU_DEP_1) | instskip(NEXT) | instid1(VALU_DEP_1)
	v_mul_lo_u32 v3, v7, s14
	v_sub_nc_u32_e32 v0, v0, v3
	v_add_nc_u32_e32 v3, 1, v7
	s_delay_alu instid0(VALU_DEP_2) | instskip(NEXT) | instid1(VALU_DEP_2)
	v_cmp_le_u32_e32 vcc_lo, s14, v0
	v_dual_cndmask_b32 v6, v7, v3 :: v_dual_ashrrev_i32 v3, 31, v2
	v_subrev_nc_u32_e32 v5, s14, v0
	s_delay_alu instid0(VALU_DEP_1) | instskip(NEXT) | instid1(VALU_DEP_1)
	v_dual_cndmask_b32 v0, v0, v5 :: v_dual_add_nc_u32 v5, 1, v6
	v_cmp_le_u32_e32 vcc_lo, s14, v0
	s_delay_alu instid0(VALU_DEP_2) | instskip(NEXT) | instid1(VALU_DEP_1)
	v_dual_cndmask_b32 v0, v6, v5, vcc_lo :: v_dual_bitop2_b32 v7, s16, v3 bitop3:0x14
	v_xor_b32_e32 v0, v0, v7
	s_delay_alu instid0(VALU_DEP_1) | instskip(NEXT) | instid1(VALU_DEP_1)
	v_sub_nc_u32_e32 v0, v0, v7
	v_mad_u32 v5, s17, v0, v2
	s_delay_alu instid0(VALU_DEP_1)
	v_cmp_le_i32_e32 vcc_lo, v5, v0
	v_mov_b32_e32 v0, s10
	s_and_saveexec_b32 s20, vcc_lo
	s_cbranch_execz .LBB2_3
; %bb.5:                                ;   in Loop: Header=BB2_4 Depth=1
	v_lshl_add_u64 v[6:7], v[2:3], 2, s[8:9]
	global_load_b32 v0, v[6:7], off
	s_branch .LBB2_3
.LBB2_6:
	s_or_b32 exec_lo, exec_lo, s11
	s_mov_b32 s11, 0
.LBB2_7:
	s_delay_alu instid0(SALU_CYCLE_1)
	s_and_not1_b32 vcc_lo, exec_lo, s11
	s_cbranch_vccnz .LBB2_13
; %bb.8:
	s_mul_i32 s11, s15, s6
	s_mov_b32 s6, exec_lo
	s_delay_alu instid0(VALU_DEP_1)
	v_cmpx_gt_i32_e64 s11, v4
	s_cbranch_execz .LBB2_13
; %bb.9:
	s_abs_i32 s14, s5
	s_abs_i32 s4, s4
	s_cvt_f32_u32 s6, s14
	s_abs_i32 s15, s15
	s_cvt_f32_u32 s12, s4
	s_cvt_f32_u32 s13, s15
	v_rcp_iflag_f32_e32 v0, s6
	s_load_b32 s17, s[0:1], 0x0
	v_rcp_iflag_f32_e32 v1, s12
	v_rcp_iflag_f32_e32 v2, s13
	s_sub_co_i32 s13, 0, s14
	s_sub_co_i32 s18, 0, s4
	;; [unrolled: 1-line block ×3, first 2 shown]
	s_wait_xcnt 0x0
	v_readfirstlane_b32 s0, v0
	s_mov_b32 s1, 0
	v_readfirstlane_b32 s6, v1
	v_readfirstlane_b32 s12, v2
	v_mov_b32_e32 v1, 0
	s_mul_f32 s0, s0, 0x4f7ffffe
	s_ashr_i32 s16, s5, 31
	s_mul_f32 s6, s6, 0x4f7ffffe
	s_mul_f32 s12, s12, 0x4f7ffffe
	s_cvt_u32_f32 s0, s0
	s_delay_alu instid0(SALU_CYCLE_1) | instskip(NEXT) | instid1(SALU_CYCLE_1)
	s_cvt_u32_f32 s6, s6
	s_cvt_u32_f32 s12, s12
	s_delay_alu instid0(SALU_CYCLE_1)
	s_mul_i32 s13, s13, s0
	s_wait_kmcnt 0x0
	s_mul_i32 s17, s17, s7
	s_mul_i32 s18, s18, s6
	;; [unrolled: 1-line block ×3, first 2 shown]
	s_mul_hi_u32 s7, s0, s13
	s_mul_hi_u32 s13, s6, s18
	s_add_co_i32 s0, s0, s7
	s_add_co_i32 s6, s6, s13
	s_mul_hi_u32 s13, s12, s19
	s_mov_b32 s7, s1
	s_add_co_i32 s12, s12, s13
	s_mov_b32 s13, s1
	s_sub_co_i32 s18, 0, s5
	s_mov_b32 s19, s1
	s_branch .LBB2_11
.LBB2_10:                               ;   in Loop: Header=BB2_11 Depth=1
	s_wait_xcnt 0x0
	s_or_b32 exec_lo, exec_lo, s20
	v_add_nc_u32_e32 v4, s17, v4
	v_lshl_add_u64 v[2:3], v[2:3], 2, s[2:3]
	s_delay_alu instid0(VALU_DEP_2)
	v_cmp_le_i32_e32 vcc_lo, s11, v4
	s_wait_loadcnt 0x0
	global_store_b32 v[2:3], v0, off
	s_or_b32 s19, vcc_lo, s19
	s_wait_xcnt 0x0
	s_and_not1_b32 exec_lo, exec_lo, s19
	s_cbranch_execz .LBB2_13
.LBB2_11:                               ; =>This Inner Loop Header: Depth=1
	v_sub_nc_u32_e32 v0, 0, v4
	s_delay_alu instid0(VALU_DEP_1) | instskip(NEXT) | instid1(VALU_DEP_1)
	v_max_i32_e32 v0, v4, v0
	v_mul_u64_e32 v[2:3], s[0:1], v[0:1]
	s_delay_alu instid0(VALU_DEP_1) | instskip(NEXT) | instid1(VALU_DEP_1)
	v_mul_lo_u32 v2, v3, s14
	v_dual_sub_nc_u32 v0, v0, v2 :: v_dual_add_nc_u32 v2, 1, v3
	s_delay_alu instid0(VALU_DEP_1) | instskip(NEXT) | instid1(VALU_DEP_2)
	v_cmp_le_u32_e32 vcc_lo, s14, v0
	v_dual_cndmask_b32 v2, v3, v2 :: v_dual_ashrrev_i32 v3, 31, v4
	v_subrev_nc_u32_e32 v5, s14, v0
	s_delay_alu instid0(VALU_DEP_1) | instskip(NEXT) | instid1(VALU_DEP_1)
	v_dual_cndmask_b32 v0, v0, v5 :: v_dual_add_nc_u32 v5, 1, v2
	v_cmp_le_u32_e32 vcc_lo, s14, v0
	s_delay_alu instid0(VALU_DEP_2) | instskip(NEXT) | instid1(VALU_DEP_1)
	v_dual_cndmask_b32 v0, v2, v5, vcc_lo :: v_dual_bitop2_b32 v6, s16, v3 bitop3:0x14
	v_xor_b32_e32 v5, v0, v6
	s_delay_alu instid0(VALU_DEP_1) | instskip(NEXT) | instid1(VALU_DEP_1)
	v_sub_nc_u32_e32 v7, v5, v6
	v_dual_sub_nc_u32 v0, 0, v7 :: v_dual_ashrrev_i32 v8, 31, v7
	s_delay_alu instid0(VALU_DEP_1) | instskip(NEXT) | instid1(VALU_DEP_1)
	v_max_i32_e32 v0, v7, v0
	v_mul_u64_e32 v[2:3], s[6:7], v[0:1]
	s_delay_alu instid0(VALU_DEP_1) | instskip(NEXT) | instid1(VALU_DEP_1)
	v_mul_lo_u32 v2, v3, s4
	v_sub_nc_u32_e32 v0, v0, v2
	s_delay_alu instid0(VALU_DEP_1) | instskip(SKIP_1) | instid1(VALU_DEP_2)
	v_subrev_nc_u32_e32 v2, s4, v0
	v_cmp_le_u32_e32 vcc_lo, s4, v0
	v_cndmask_b32_e32 v0, v0, v2, vcc_lo
	s_delay_alu instid0(VALU_DEP_1) | instskip(SKIP_1) | instid1(VALU_DEP_2)
	v_subrev_nc_u32_e32 v2, s4, v0
	v_cmp_le_u32_e32 vcc_lo, s4, v0
	v_cndmask_b32_e32 v0, v0, v2, vcc_lo
	s_delay_alu instid0(VALU_DEP_1) | instskip(NEXT) | instid1(VALU_DEP_1)
	v_xor_b32_e32 v9, v0, v8
	v_add_nc_u32_e32 v0, v9, v6
	s_delay_alu instid0(VALU_DEP_1) | instskip(NEXT) | instid1(VALU_DEP_1)
	v_sub_nc_u32_e32 v0, v0, v5
	v_sub_nc_u32_e32 v0, v0, v8
	s_delay_alu instid0(VALU_DEP_1) | instskip(NEXT) | instid1(VALU_DEP_1)
	v_mad_u32 v0, s5, v0, v4
	v_sub_nc_u32_e32 v5, v4, v0
	s_delay_alu instid0(VALU_DEP_1) | instskip(NEXT) | instid1(VALU_DEP_1)
	v_sub_nc_u32_e32 v0, 0, v5
	v_max_i32_e32 v0, v5, v0
	s_delay_alu instid0(VALU_DEP_1) | instskip(NEXT) | instid1(VALU_DEP_1)
	v_mul_u64_e32 v[2:3], s[12:13], v[0:1]
	v_mul_lo_u32 v2, v3, s15
	v_ashrrev_i32_e32 v3, 31, v5
	v_mad_u32 v5, s18, v7, v4
	s_delay_alu instid0(VALU_DEP_3) | instskip(NEXT) | instid1(VALU_DEP_1)
	v_sub_nc_u32_e32 v0, v0, v2
	v_subrev_nc_u32_e32 v2, s15, v0
	v_cmp_le_u32_e32 vcc_lo, s15, v0
	s_delay_alu instid0(VALU_DEP_2) | instskip(NEXT) | instid1(VALU_DEP_1)
	v_cndmask_b32_e32 v0, v0, v2, vcc_lo
	v_subrev_nc_u32_e32 v2, s15, v0
	v_cmp_le_u32_e32 vcc_lo, s15, v0
	s_delay_alu instid0(VALU_DEP_2) | instskip(NEXT) | instid1(VALU_DEP_1)
	v_cndmask_b32_e32 v0, v0, v2, vcc_lo
	v_xor_b32_e32 v0, v0, v3
	s_delay_alu instid0(VALU_DEP_1) | instskip(SKIP_1) | instid1(VALU_DEP_2)
	v_sub_nc_u32_e32 v0, v3, v0
	v_sub_nc_u32_e32 v3, v9, v8
	v_dual_add_nc_u32 v2, v4, v0 :: v_dual_mov_b32 v0, s10
	s_delay_alu instid0(VALU_DEP_2) | instskip(NEXT) | instid1(VALU_DEP_2)
	v_cmp_le_i32_e32 vcc_lo, v5, v3
	v_ashrrev_i32_e32 v3, 31, v2
	s_and_saveexec_b32 s20, vcc_lo
	s_cbranch_execz .LBB2_10
; %bb.12:                               ;   in Loop: Header=BB2_11 Depth=1
	s_delay_alu instid0(VALU_DEP_1)
	v_lshl_add_u64 v[6:7], v[2:3], 2, s[8:9]
	global_load_b32 v0, v[6:7], off
	s_branch .LBB2_10
.LBB2_13:
	s_endpgm
	.section	.rodata,"a",@progbits
	.p2align	6, 0x0
	.amdhsa_kernel _Z15upperMaskKernelIiEviiiPKT_S0_PS0_
		.amdhsa_group_segment_fixed_size 0
		.amdhsa_private_segment_fixed_size 0
		.amdhsa_kernarg_size 296
		.amdhsa_user_sgpr_count 2
		.amdhsa_user_sgpr_dispatch_ptr 0
		.amdhsa_user_sgpr_queue_ptr 0
		.amdhsa_user_sgpr_kernarg_segment_ptr 1
		.amdhsa_user_sgpr_dispatch_id 0
		.amdhsa_user_sgpr_kernarg_preload_length 0
		.amdhsa_user_sgpr_kernarg_preload_offset 0
		.amdhsa_user_sgpr_private_segment_size 0
		.amdhsa_wavefront_size32 1
		.amdhsa_uses_dynamic_stack 0
		.amdhsa_enable_private_segment 0
		.amdhsa_system_sgpr_workgroup_id_x 1
		.amdhsa_system_sgpr_workgroup_id_y 0
		.amdhsa_system_sgpr_workgroup_id_z 0
		.amdhsa_system_sgpr_workgroup_info 0
		.amdhsa_system_vgpr_workitem_id 0
		.amdhsa_next_free_vgpr 10
		.amdhsa_next_free_sgpr 21
		.amdhsa_named_barrier_count 0
		.amdhsa_reserve_vcc 1
		.amdhsa_float_round_mode_32 0
		.amdhsa_float_round_mode_16_64 0
		.amdhsa_float_denorm_mode_32 3
		.amdhsa_float_denorm_mode_16_64 3
		.amdhsa_fp16_overflow 0
		.amdhsa_memory_ordered 1
		.amdhsa_forward_progress 1
		.amdhsa_inst_pref_size 9
		.amdhsa_round_robin_scheduling 0
		.amdhsa_exception_fp_ieee_invalid_op 0
		.amdhsa_exception_fp_denorm_src 0
		.amdhsa_exception_fp_ieee_div_zero 0
		.amdhsa_exception_fp_ieee_overflow 0
		.amdhsa_exception_fp_ieee_underflow 0
		.amdhsa_exception_fp_ieee_inexact 0
		.amdhsa_exception_int_div_zero 0
	.end_amdhsa_kernel
	.section	.text._Z15upperMaskKernelIiEviiiPKT_S0_PS0_,"axG",@progbits,_Z15upperMaskKernelIiEviiiPKT_S0_PS0_,comdat
.Lfunc_end2:
	.size	_Z15upperMaskKernelIiEviiiPKT_S0_PS0_, .Lfunc_end2-_Z15upperMaskKernelIiEviiiPKT_S0_PS0_
                                        ; -- End function
	.set _Z15upperMaskKernelIiEviiiPKT_S0_PS0_.num_vgpr, 10
	.set _Z15upperMaskKernelIiEviiiPKT_S0_PS0_.num_agpr, 0
	.set _Z15upperMaskKernelIiEviiiPKT_S0_PS0_.numbered_sgpr, 21
	.set _Z15upperMaskKernelIiEviiiPKT_S0_PS0_.num_named_barrier, 0
	.set _Z15upperMaskKernelIiEviiiPKT_S0_PS0_.private_seg_size, 0
	.set _Z15upperMaskKernelIiEviiiPKT_S0_PS0_.uses_vcc, 1
	.set _Z15upperMaskKernelIiEviiiPKT_S0_PS0_.uses_flat_scratch, 0
	.set _Z15upperMaskKernelIiEviiiPKT_S0_PS0_.has_dyn_sized_stack, 0
	.set _Z15upperMaskKernelIiEviiiPKT_S0_PS0_.has_recursion, 0
	.set _Z15upperMaskKernelIiEviiiPKT_S0_PS0_.has_indirect_call, 0
	.section	.AMDGPU.csdata,"",@progbits
; Kernel info:
; codeLenInByte = 1120
; TotalNumSgprs: 23
; NumVgprs: 10
; ScratchSize: 0
; MemoryBound: 0
; FloatMode: 240
; IeeeMode: 1
; LDSByteSize: 0 bytes/workgroup (compile time only)
; SGPRBlocks: 0
; VGPRBlocks: 0
; NumSGPRsForWavesPerEU: 23
; NumVGPRsForWavesPerEU: 10
; NamedBarCnt: 0
; Occupancy: 16
; WaveLimiterHint : 0
; COMPUTE_PGM_RSRC2:SCRATCH_EN: 0
; COMPUTE_PGM_RSRC2:USER_SGPR: 2
; COMPUTE_PGM_RSRC2:TRAP_HANDLER: 0
; COMPUTE_PGM_RSRC2:TGID_X_EN: 1
; COMPUTE_PGM_RSRC2:TGID_Y_EN: 0
; COMPUTE_PGM_RSRC2:TGID_Z_EN: 0
; COMPUTE_PGM_RSRC2:TIDIG_COMP_CNT: 0
	.section	.text._Z15lowerMaskKernelIiEviiiPKT_S0_PS0_,"axG",@progbits,_Z15lowerMaskKernelIiEviiiPKT_S0_PS0_,comdat
	.protected	_Z15lowerMaskKernelIiEviiiPKT_S0_PS0_ ; -- Begin function _Z15lowerMaskKernelIiEviiiPKT_S0_PS0_
	.globl	_Z15lowerMaskKernelIiEviiiPKT_S0_PS0_
	.p2align	8
	.type	_Z15lowerMaskKernelIiEviiiPKT_S0_PS0_,@function
_Z15lowerMaskKernelIiEviiiPKT_S0_PS0_:  ; @_Z15lowerMaskKernelIiEviiiPKT_S0_PS0_
; %bb.0:
	s_clause 0x2
	s_load_b32 s7, s[0:1], 0x34
	s_load_b64 s[2:3], s[0:1], 0x20
	s_load_b96 s[4:6], s[0:1], 0x0
	s_bfe_u32 s12, ttmp6, 0x4000c
	s_load_b96 s[8:10], s[0:1], 0x10
	s_add_co_i32 s12, s12, 1
	s_and_b32 s11, ttmp6, 15
	s_mul_i32 s12, ttmp9, s12
	s_getreg_b32 s13, hwreg(HW_REG_IB_STS2, 6, 4)
	s_add_co_i32 s11, s11, s12
	s_wait_xcnt 0x0
	s_add_nc_u64 s[0:1], s[0:1], 40
	s_wait_kmcnt 0x0
	s_and_b32 s7, s7, 0xffff
	s_cmp_eq_u32 s13, 0
	s_mul_i32 s15, s5, s4
	s_cselect_b32 s11, ttmp9, s11
	s_cmp_lt_i32 s6, 0
	v_mad_u32 v4, s11, s7, v0
	s_mov_b32 s11, -1
	s_cbranch_scc0 .LBB3_7
; %bb.1:
	s_mov_b32 s11, exec_lo
	s_delay_alu instid0(VALU_DEP_1)
	v_cmpx_gt_i32_e64 s15, v4
	s_cbranch_execz .LBB3_6
; %bb.2:
	s_abs_i32 s14, s5
	s_load_b32 s18, s[0:1], 0x0
	s_cvt_f32_u32 s12, s14
	s_sub_co_i32 s19, 0, s14
	v_dual_mov_b32 v1, 0 :: v_dual_mov_b32 v2, v4
	s_delay_alu instid0(SALU_CYCLE_1) | instskip(SKIP_4) | instid1(TRANS32_DEP_1)
	v_rcp_iflag_f32_e32 v0, s12
	s_mov_b32 s13, 0
	s_ashr_i32 s16, s5, 31
	s_sub_co_i32 s17, 0, s5
	v_nop
	v_readfirstlane_b32 s12, v0
	s_mul_f32 s12, s12, 0x4f7ffffe
	s_wait_kmcnt 0x0
	s_mul_i32 s18, s18, s7
	s_delay_alu instid0(SALU_CYCLE_1) | instskip(NEXT) | instid1(SALU_CYCLE_3)
	s_cvt_u32_f32 s12, s12
	s_mul_i32 s19, s19, s12
	s_delay_alu instid0(SALU_CYCLE_1) | instskip(NEXT) | instid1(SALU_CYCLE_1)
	s_mul_hi_u32 s19, s12, s19
	s_add_co_i32 s12, s12, s19
	s_mov_b32 s19, s13
	s_branch .LBB3_4
.LBB3_3:                                ;   in Loop: Header=BB3_4 Depth=1
	s_wait_xcnt 0x0
	s_or_b32 exec_lo, exec_lo, s20
	v_lshl_add_u64 v[6:7], v[2:3], 2, s[2:3]
	v_add_nc_u32_e32 v2, s18, v2
	s_wait_loadcnt 0x0
	global_store_b32 v[6:7], v0, off
	v_cmp_le_i32_e32 vcc_lo, s15, v2
	s_or_b32 s19, vcc_lo, s19
	s_wait_xcnt 0x0
	s_and_not1_b32 exec_lo, exec_lo, s19
	s_cbranch_execz .LBB3_6
.LBB3_4:                                ; =>This Inner Loop Header: Depth=1
	v_sub_nc_u32_e32 v0, 0, v2
	s_delay_alu instid0(VALU_DEP_1) | instskip(NEXT) | instid1(VALU_DEP_1)
	v_max_i32_e32 v0, v2, v0
	v_mul_u64_e32 v[6:7], s[12:13], v[0:1]
	s_delay_alu instid0(VALU_DEP_1) | instskip(NEXT) | instid1(VALU_DEP_1)
	v_mul_lo_u32 v3, v7, s14
	v_sub_nc_u32_e32 v0, v0, v3
	v_add_nc_u32_e32 v3, 1, v7
	s_delay_alu instid0(VALU_DEP_2) | instskip(NEXT) | instid1(VALU_DEP_2)
	v_cmp_le_u32_e32 vcc_lo, s14, v0
	v_dual_cndmask_b32 v6, v7, v3 :: v_dual_ashrrev_i32 v3, 31, v2
	v_subrev_nc_u32_e32 v5, s14, v0
	s_delay_alu instid0(VALU_DEP_1) | instskip(NEXT) | instid1(VALU_DEP_1)
	v_dual_cndmask_b32 v0, v0, v5 :: v_dual_add_nc_u32 v5, 1, v6
	v_cmp_le_u32_e32 vcc_lo, s14, v0
	s_delay_alu instid0(VALU_DEP_2) | instskip(NEXT) | instid1(VALU_DEP_1)
	v_dual_cndmask_b32 v0, v6, v5, vcc_lo :: v_dual_bitop2_b32 v7, s16, v3 bitop3:0x14
	v_xor_b32_e32 v0, v0, v7
	s_delay_alu instid0(VALU_DEP_1) | instskip(NEXT) | instid1(VALU_DEP_1)
	v_sub_nc_u32_e32 v0, v0, v7
	v_mad_u32 v5, s17, v0, v2
	s_delay_alu instid0(VALU_DEP_1)
	v_cmp_ge_i32_e32 vcc_lo, v5, v0
	v_mov_b32_e32 v0, s10
	s_and_saveexec_b32 s20, vcc_lo
	s_cbranch_execz .LBB3_3
; %bb.5:                                ;   in Loop: Header=BB3_4 Depth=1
	v_lshl_add_u64 v[6:7], v[2:3], 2, s[8:9]
	global_load_b32 v0, v[6:7], off
	s_branch .LBB3_3
.LBB3_6:
	s_or_b32 exec_lo, exec_lo, s11
	s_mov_b32 s11, 0
.LBB3_7:
	s_delay_alu instid0(SALU_CYCLE_1)
	s_and_not1_b32 vcc_lo, exec_lo, s11
	s_cbranch_vccnz .LBB3_13
; %bb.8:
	s_mul_i32 s11, s15, s6
	s_mov_b32 s6, exec_lo
	s_delay_alu instid0(VALU_DEP_1)
	v_cmpx_gt_i32_e64 s11, v4
	s_cbranch_execz .LBB3_13
; %bb.9:
	s_abs_i32 s14, s5
	s_abs_i32 s4, s4
	s_cvt_f32_u32 s6, s14
	s_abs_i32 s15, s15
	s_cvt_f32_u32 s12, s4
	s_cvt_f32_u32 s13, s15
	v_rcp_iflag_f32_e32 v0, s6
	s_load_b32 s17, s[0:1], 0x0
	v_rcp_iflag_f32_e32 v1, s12
	v_rcp_iflag_f32_e32 v2, s13
	s_sub_co_i32 s13, 0, s14
	s_sub_co_i32 s18, 0, s4
	;; [unrolled: 1-line block ×3, first 2 shown]
	s_wait_xcnt 0x0
	v_readfirstlane_b32 s0, v0
	s_mov_b32 s1, 0
	v_readfirstlane_b32 s6, v1
	v_readfirstlane_b32 s12, v2
	v_mov_b32_e32 v1, 0
	s_mul_f32 s0, s0, 0x4f7ffffe
	s_ashr_i32 s16, s5, 31
	s_mul_f32 s6, s6, 0x4f7ffffe
	s_mul_f32 s12, s12, 0x4f7ffffe
	s_cvt_u32_f32 s0, s0
	s_delay_alu instid0(SALU_CYCLE_1) | instskip(NEXT) | instid1(SALU_CYCLE_1)
	s_cvt_u32_f32 s6, s6
	s_cvt_u32_f32 s12, s12
	s_delay_alu instid0(SALU_CYCLE_1)
	s_mul_i32 s13, s13, s0
	s_wait_kmcnt 0x0
	s_mul_i32 s17, s17, s7
	s_mul_i32 s18, s18, s6
	;; [unrolled: 1-line block ×3, first 2 shown]
	s_mul_hi_u32 s7, s0, s13
	s_mul_hi_u32 s13, s6, s18
	s_add_co_i32 s0, s0, s7
	s_add_co_i32 s6, s6, s13
	s_mul_hi_u32 s13, s12, s19
	s_mov_b32 s7, s1
	s_add_co_i32 s12, s12, s13
	s_mov_b32 s13, s1
	s_sub_co_i32 s18, 0, s5
	s_mov_b32 s19, s1
	s_branch .LBB3_11
.LBB3_10:                               ;   in Loop: Header=BB3_11 Depth=1
	s_wait_xcnt 0x0
	s_or_b32 exec_lo, exec_lo, s20
	v_add_nc_u32_e32 v4, s17, v4
	v_lshl_add_u64 v[2:3], v[2:3], 2, s[2:3]
	s_delay_alu instid0(VALU_DEP_2)
	v_cmp_le_i32_e32 vcc_lo, s11, v4
	s_wait_loadcnt 0x0
	global_store_b32 v[2:3], v0, off
	s_or_b32 s19, vcc_lo, s19
	s_wait_xcnt 0x0
	s_and_not1_b32 exec_lo, exec_lo, s19
	s_cbranch_execz .LBB3_13
.LBB3_11:                               ; =>This Inner Loop Header: Depth=1
	v_sub_nc_u32_e32 v0, 0, v4
	s_delay_alu instid0(VALU_DEP_1) | instskip(NEXT) | instid1(VALU_DEP_1)
	v_max_i32_e32 v0, v4, v0
	v_mul_u64_e32 v[2:3], s[0:1], v[0:1]
	s_delay_alu instid0(VALU_DEP_1) | instskip(NEXT) | instid1(VALU_DEP_1)
	v_mul_lo_u32 v2, v3, s14
	v_dual_sub_nc_u32 v0, v0, v2 :: v_dual_add_nc_u32 v2, 1, v3
	s_delay_alu instid0(VALU_DEP_1) | instskip(NEXT) | instid1(VALU_DEP_2)
	v_cmp_le_u32_e32 vcc_lo, s14, v0
	v_dual_cndmask_b32 v2, v3, v2 :: v_dual_ashrrev_i32 v3, 31, v4
	v_subrev_nc_u32_e32 v5, s14, v0
	s_delay_alu instid0(VALU_DEP_1) | instskip(NEXT) | instid1(VALU_DEP_1)
	v_dual_cndmask_b32 v0, v0, v5 :: v_dual_add_nc_u32 v5, 1, v2
	v_cmp_le_u32_e32 vcc_lo, s14, v0
	s_delay_alu instid0(VALU_DEP_2) | instskip(NEXT) | instid1(VALU_DEP_1)
	v_dual_cndmask_b32 v0, v2, v5, vcc_lo :: v_dual_bitop2_b32 v6, s16, v3 bitop3:0x14
	v_xor_b32_e32 v5, v0, v6
	s_delay_alu instid0(VALU_DEP_1) | instskip(NEXT) | instid1(VALU_DEP_1)
	v_sub_nc_u32_e32 v7, v5, v6
	v_dual_sub_nc_u32 v0, 0, v7 :: v_dual_ashrrev_i32 v8, 31, v7
	s_delay_alu instid0(VALU_DEP_1) | instskip(NEXT) | instid1(VALU_DEP_1)
	v_max_i32_e32 v0, v7, v0
	v_mul_u64_e32 v[2:3], s[6:7], v[0:1]
	s_delay_alu instid0(VALU_DEP_1) | instskip(NEXT) | instid1(VALU_DEP_1)
	v_mul_lo_u32 v2, v3, s4
	v_sub_nc_u32_e32 v0, v0, v2
	s_delay_alu instid0(VALU_DEP_1) | instskip(SKIP_1) | instid1(VALU_DEP_2)
	v_subrev_nc_u32_e32 v2, s4, v0
	v_cmp_le_u32_e32 vcc_lo, s4, v0
	v_cndmask_b32_e32 v0, v0, v2, vcc_lo
	s_delay_alu instid0(VALU_DEP_1) | instskip(SKIP_1) | instid1(VALU_DEP_2)
	v_subrev_nc_u32_e32 v2, s4, v0
	v_cmp_le_u32_e32 vcc_lo, s4, v0
	v_cndmask_b32_e32 v0, v0, v2, vcc_lo
	s_delay_alu instid0(VALU_DEP_1) | instskip(NEXT) | instid1(VALU_DEP_1)
	v_xor_b32_e32 v9, v0, v8
	v_add_nc_u32_e32 v0, v9, v6
	s_delay_alu instid0(VALU_DEP_1) | instskip(NEXT) | instid1(VALU_DEP_1)
	v_sub_nc_u32_e32 v0, v0, v5
	v_sub_nc_u32_e32 v0, v0, v8
	s_delay_alu instid0(VALU_DEP_1) | instskip(NEXT) | instid1(VALU_DEP_1)
	v_mad_u32 v0, s5, v0, v4
	v_sub_nc_u32_e32 v5, v4, v0
	s_delay_alu instid0(VALU_DEP_1) | instskip(NEXT) | instid1(VALU_DEP_1)
	v_sub_nc_u32_e32 v0, 0, v5
	v_max_i32_e32 v0, v5, v0
	s_delay_alu instid0(VALU_DEP_1) | instskip(NEXT) | instid1(VALU_DEP_1)
	v_mul_u64_e32 v[2:3], s[12:13], v[0:1]
	v_mul_lo_u32 v2, v3, s15
	v_ashrrev_i32_e32 v3, 31, v5
	v_mad_u32 v5, s18, v7, v4
	s_delay_alu instid0(VALU_DEP_3) | instskip(NEXT) | instid1(VALU_DEP_1)
	v_sub_nc_u32_e32 v0, v0, v2
	v_subrev_nc_u32_e32 v2, s15, v0
	v_cmp_le_u32_e32 vcc_lo, s15, v0
	s_delay_alu instid0(VALU_DEP_2) | instskip(NEXT) | instid1(VALU_DEP_1)
	v_cndmask_b32_e32 v0, v0, v2, vcc_lo
	v_subrev_nc_u32_e32 v2, s15, v0
	v_cmp_le_u32_e32 vcc_lo, s15, v0
	s_delay_alu instid0(VALU_DEP_2) | instskip(NEXT) | instid1(VALU_DEP_1)
	v_cndmask_b32_e32 v0, v0, v2, vcc_lo
	v_xor_b32_e32 v0, v0, v3
	s_delay_alu instid0(VALU_DEP_1) | instskip(SKIP_1) | instid1(VALU_DEP_2)
	v_sub_nc_u32_e32 v0, v3, v0
	v_sub_nc_u32_e32 v3, v9, v8
	v_dual_add_nc_u32 v2, v4, v0 :: v_dual_mov_b32 v0, s10
	s_delay_alu instid0(VALU_DEP_2) | instskip(NEXT) | instid1(VALU_DEP_2)
	v_cmp_ge_i32_e32 vcc_lo, v5, v3
	v_ashrrev_i32_e32 v3, 31, v2
	s_and_saveexec_b32 s20, vcc_lo
	s_cbranch_execz .LBB3_10
; %bb.12:                               ;   in Loop: Header=BB3_11 Depth=1
	s_delay_alu instid0(VALU_DEP_1)
	v_lshl_add_u64 v[6:7], v[2:3], 2, s[8:9]
	global_load_b32 v0, v[6:7], off
	s_branch .LBB3_10
.LBB3_13:
	s_endpgm
	.section	.rodata,"a",@progbits
	.p2align	6, 0x0
	.amdhsa_kernel _Z15lowerMaskKernelIiEviiiPKT_S0_PS0_
		.amdhsa_group_segment_fixed_size 0
		.amdhsa_private_segment_fixed_size 0
		.amdhsa_kernarg_size 296
		.amdhsa_user_sgpr_count 2
		.amdhsa_user_sgpr_dispatch_ptr 0
		.amdhsa_user_sgpr_queue_ptr 0
		.amdhsa_user_sgpr_kernarg_segment_ptr 1
		.amdhsa_user_sgpr_dispatch_id 0
		.amdhsa_user_sgpr_kernarg_preload_length 0
		.amdhsa_user_sgpr_kernarg_preload_offset 0
		.amdhsa_user_sgpr_private_segment_size 0
		.amdhsa_wavefront_size32 1
		.amdhsa_uses_dynamic_stack 0
		.amdhsa_enable_private_segment 0
		.amdhsa_system_sgpr_workgroup_id_x 1
		.amdhsa_system_sgpr_workgroup_id_y 0
		.amdhsa_system_sgpr_workgroup_id_z 0
		.amdhsa_system_sgpr_workgroup_info 0
		.amdhsa_system_vgpr_workitem_id 0
		.amdhsa_next_free_vgpr 10
		.amdhsa_next_free_sgpr 21
		.amdhsa_named_barrier_count 0
		.amdhsa_reserve_vcc 1
		.amdhsa_float_round_mode_32 0
		.amdhsa_float_round_mode_16_64 0
		.amdhsa_float_denorm_mode_32 3
		.amdhsa_float_denorm_mode_16_64 3
		.amdhsa_fp16_overflow 0
		.amdhsa_memory_ordered 1
		.amdhsa_forward_progress 1
		.amdhsa_inst_pref_size 9
		.amdhsa_round_robin_scheduling 0
		.amdhsa_exception_fp_ieee_invalid_op 0
		.amdhsa_exception_fp_denorm_src 0
		.amdhsa_exception_fp_ieee_div_zero 0
		.amdhsa_exception_fp_ieee_overflow 0
		.amdhsa_exception_fp_ieee_underflow 0
		.amdhsa_exception_fp_ieee_inexact 0
		.amdhsa_exception_int_div_zero 0
	.end_amdhsa_kernel
	.section	.text._Z15lowerMaskKernelIiEviiiPKT_S0_PS0_,"axG",@progbits,_Z15lowerMaskKernelIiEviiiPKT_S0_PS0_,comdat
.Lfunc_end3:
	.size	_Z15lowerMaskKernelIiEviiiPKT_S0_PS0_, .Lfunc_end3-_Z15lowerMaskKernelIiEviiiPKT_S0_PS0_
                                        ; -- End function
	.set _Z15lowerMaskKernelIiEviiiPKT_S0_PS0_.num_vgpr, 10
	.set _Z15lowerMaskKernelIiEviiiPKT_S0_PS0_.num_agpr, 0
	.set _Z15lowerMaskKernelIiEviiiPKT_S0_PS0_.numbered_sgpr, 21
	.set _Z15lowerMaskKernelIiEviiiPKT_S0_PS0_.num_named_barrier, 0
	.set _Z15lowerMaskKernelIiEviiiPKT_S0_PS0_.private_seg_size, 0
	.set _Z15lowerMaskKernelIiEviiiPKT_S0_PS0_.uses_vcc, 1
	.set _Z15lowerMaskKernelIiEviiiPKT_S0_PS0_.uses_flat_scratch, 0
	.set _Z15lowerMaskKernelIiEviiiPKT_S0_PS0_.has_dyn_sized_stack, 0
	.set _Z15lowerMaskKernelIiEviiiPKT_S0_PS0_.has_recursion, 0
	.set _Z15lowerMaskKernelIiEviiiPKT_S0_PS0_.has_indirect_call, 0
	.section	.AMDGPU.csdata,"",@progbits
; Kernel info:
; codeLenInByte = 1120
; TotalNumSgprs: 23
; NumVgprs: 10
; ScratchSize: 0
; MemoryBound: 0
; FloatMode: 240
; IeeeMode: 1
; LDSByteSize: 0 bytes/workgroup (compile time only)
; SGPRBlocks: 0
; VGPRBlocks: 0
; NumSGPRsForWavesPerEU: 23
; NumVGPRsForWavesPerEU: 10
; NamedBarCnt: 0
; Occupancy: 16
; WaveLimiterHint : 0
; COMPUTE_PGM_RSRC2:SCRATCH_EN: 0
; COMPUTE_PGM_RSRC2:USER_SGPR: 2
; COMPUTE_PGM_RSRC2:TRAP_HANDLER: 0
; COMPUTE_PGM_RSRC2:TGID_X_EN: 1
; COMPUTE_PGM_RSRC2:TGID_Y_EN: 0
; COMPUTE_PGM_RSRC2:TGID_Z_EN: 0
; COMPUTE_PGM_RSRC2:TIDIG_COMP_CNT: 0
	.section	.text._Z19upperDiagMaskKernelIiEviiiPKT_S0_PS0_,"axG",@progbits,_Z19upperDiagMaskKernelIiEviiiPKT_S0_PS0_,comdat
	.protected	_Z19upperDiagMaskKernelIiEviiiPKT_S0_PS0_ ; -- Begin function _Z19upperDiagMaskKernelIiEviiiPKT_S0_PS0_
	.globl	_Z19upperDiagMaskKernelIiEviiiPKT_S0_PS0_
	.p2align	8
	.type	_Z19upperDiagMaskKernelIiEviiiPKT_S0_PS0_,@function
_Z19upperDiagMaskKernelIiEviiiPKT_S0_PS0_: ; @_Z19upperDiagMaskKernelIiEviiiPKT_S0_PS0_
; %bb.0:
	s_clause 0x2
	s_load_b32 s7, s[0:1], 0x34
	s_load_b64 s[2:3], s[0:1], 0x20
	s_load_b96 s[4:6], s[0:1], 0x0
	s_bfe_u32 s12, ttmp6, 0x4000c
	s_load_b96 s[8:10], s[0:1], 0x10
	s_add_co_i32 s12, s12, 1
	s_and_b32 s11, ttmp6, 15
	s_mul_i32 s12, ttmp9, s12
	s_getreg_b32 s13, hwreg(HW_REG_IB_STS2, 6, 4)
	s_add_co_i32 s11, s11, s12
	s_wait_xcnt 0x0
	s_add_nc_u64 s[0:1], s[0:1], 40
	s_wait_kmcnt 0x0
	s_and_b32 s7, s7, 0xffff
	s_cmp_eq_u32 s13, 0
	s_mul_i32 s15, s5, s4
	s_cselect_b32 s11, ttmp9, s11
	s_cmp_lt_i32 s6, 0
	v_mad_u32 v4, s11, s7, v0
	s_mov_b32 s11, -1
	s_cbranch_scc0 .LBB4_7
; %bb.1:
	s_mov_b32 s11, exec_lo
	s_delay_alu instid0(VALU_DEP_1)
	v_cmpx_gt_i32_e64 s15, v4
	s_cbranch_execz .LBB4_6
; %bb.2:
	s_abs_i32 s14, s5
	s_load_b32 s18, s[0:1], 0x0
	s_cvt_f32_u32 s12, s14
	s_sub_co_i32 s19, 0, s14
	v_dual_mov_b32 v1, 0 :: v_dual_mov_b32 v2, v4
	s_delay_alu instid0(SALU_CYCLE_1) | instskip(SKIP_4) | instid1(TRANS32_DEP_1)
	v_rcp_iflag_f32_e32 v0, s12
	s_mov_b32 s13, 0
	s_ashr_i32 s16, s5, 31
	s_sub_co_i32 s17, 0, s5
	v_nop
	v_readfirstlane_b32 s12, v0
	s_mul_f32 s12, s12, 0x4f7ffffe
	s_wait_kmcnt 0x0
	s_mul_i32 s18, s18, s7
	s_delay_alu instid0(SALU_CYCLE_1) | instskip(NEXT) | instid1(SALU_CYCLE_3)
	s_cvt_u32_f32 s12, s12
	s_mul_i32 s19, s19, s12
	s_delay_alu instid0(SALU_CYCLE_1) | instskip(NEXT) | instid1(SALU_CYCLE_1)
	s_mul_hi_u32 s19, s12, s19
	s_add_co_i32 s12, s12, s19
	s_mov_b32 s19, s13
	s_branch .LBB4_4
.LBB4_3:                                ;   in Loop: Header=BB4_4 Depth=1
	s_wait_xcnt 0x0
	s_or_b32 exec_lo, exec_lo, s20
	v_lshl_add_u64 v[6:7], v[2:3], 2, s[2:3]
	v_add_nc_u32_e32 v2, s18, v2
	s_wait_loadcnt 0x0
	global_store_b32 v[6:7], v0, off
	v_cmp_le_i32_e32 vcc_lo, s15, v2
	s_or_b32 s19, vcc_lo, s19
	s_wait_xcnt 0x0
	s_and_not1_b32 exec_lo, exec_lo, s19
	s_cbranch_execz .LBB4_6
.LBB4_4:                                ; =>This Inner Loop Header: Depth=1
	v_sub_nc_u32_e32 v0, 0, v2
	s_delay_alu instid0(VALU_DEP_1) | instskip(NEXT) | instid1(VALU_DEP_1)
	v_max_i32_e32 v0, v2, v0
	v_mul_u64_e32 v[6:7], s[12:13], v[0:1]
	s_delay_alu instid0(VALU_DEP_1) | instskip(NEXT) | instid1(VALU_DEP_1)
	v_mul_lo_u32 v3, v7, s14
	v_sub_nc_u32_e32 v0, v0, v3
	v_add_nc_u32_e32 v3, 1, v7
	s_delay_alu instid0(VALU_DEP_2) | instskip(NEXT) | instid1(VALU_DEP_2)
	v_cmp_le_u32_e32 vcc_lo, s14, v0
	v_dual_cndmask_b32 v6, v7, v3 :: v_dual_ashrrev_i32 v3, 31, v2
	v_subrev_nc_u32_e32 v5, s14, v0
	s_delay_alu instid0(VALU_DEP_1) | instskip(NEXT) | instid1(VALU_DEP_1)
	v_dual_cndmask_b32 v0, v0, v5 :: v_dual_add_nc_u32 v5, 1, v6
	v_cmp_le_u32_e32 vcc_lo, s14, v0
	s_delay_alu instid0(VALU_DEP_2) | instskip(NEXT) | instid1(VALU_DEP_1)
	v_dual_cndmask_b32 v0, v6, v5, vcc_lo :: v_dual_bitop2_b32 v7, s16, v3 bitop3:0x14
	v_xor_b32_e32 v0, v0, v7
	s_delay_alu instid0(VALU_DEP_1) | instskip(NEXT) | instid1(VALU_DEP_1)
	v_sub_nc_u32_e32 v0, v0, v7
	v_mad_u32 v5, s17, v0, v2
	s_delay_alu instid0(VALU_DEP_1)
	v_cmp_lt_i32_e32 vcc_lo, v5, v0
	v_mov_b32_e32 v0, s10
	s_and_saveexec_b32 s20, vcc_lo
	s_cbranch_execz .LBB4_3
; %bb.5:                                ;   in Loop: Header=BB4_4 Depth=1
	v_lshl_add_u64 v[6:7], v[2:3], 2, s[8:9]
	global_load_b32 v0, v[6:7], off
	s_branch .LBB4_3
.LBB4_6:
	s_or_b32 exec_lo, exec_lo, s11
	s_mov_b32 s11, 0
.LBB4_7:
	s_delay_alu instid0(SALU_CYCLE_1)
	s_and_not1_b32 vcc_lo, exec_lo, s11
	s_cbranch_vccnz .LBB4_13
; %bb.8:
	s_mul_i32 s11, s15, s6
	s_mov_b32 s6, exec_lo
	s_delay_alu instid0(VALU_DEP_1)
	v_cmpx_gt_i32_e64 s11, v4
	s_cbranch_execz .LBB4_13
; %bb.9:
	s_abs_i32 s14, s5
	s_abs_i32 s4, s4
	s_cvt_f32_u32 s6, s14
	s_abs_i32 s15, s15
	s_cvt_f32_u32 s12, s4
	s_cvt_f32_u32 s13, s15
	v_rcp_iflag_f32_e32 v0, s6
	s_load_b32 s17, s[0:1], 0x0
	v_rcp_iflag_f32_e32 v1, s12
	v_rcp_iflag_f32_e32 v2, s13
	s_sub_co_i32 s13, 0, s14
	s_sub_co_i32 s18, 0, s4
	;; [unrolled: 1-line block ×3, first 2 shown]
	s_wait_xcnt 0x0
	v_readfirstlane_b32 s0, v0
	s_mov_b32 s1, 0
	v_readfirstlane_b32 s6, v1
	v_readfirstlane_b32 s12, v2
	v_mov_b32_e32 v1, 0
	s_mul_f32 s0, s0, 0x4f7ffffe
	s_ashr_i32 s16, s5, 31
	s_mul_f32 s6, s6, 0x4f7ffffe
	s_mul_f32 s12, s12, 0x4f7ffffe
	s_cvt_u32_f32 s0, s0
	s_delay_alu instid0(SALU_CYCLE_1) | instskip(NEXT) | instid1(SALU_CYCLE_1)
	s_cvt_u32_f32 s6, s6
	s_cvt_u32_f32 s12, s12
	s_delay_alu instid0(SALU_CYCLE_1)
	s_mul_i32 s13, s13, s0
	s_wait_kmcnt 0x0
	s_mul_i32 s17, s17, s7
	s_mul_i32 s18, s18, s6
	;; [unrolled: 1-line block ×3, first 2 shown]
	s_mul_hi_u32 s7, s0, s13
	s_mul_hi_u32 s13, s6, s18
	s_add_co_i32 s0, s0, s7
	s_add_co_i32 s6, s6, s13
	s_mul_hi_u32 s13, s12, s19
	s_mov_b32 s7, s1
	s_add_co_i32 s12, s12, s13
	s_mov_b32 s13, s1
	s_sub_co_i32 s18, 0, s5
	s_mov_b32 s19, s1
	s_branch .LBB4_11
.LBB4_10:                               ;   in Loop: Header=BB4_11 Depth=1
	s_wait_xcnt 0x0
	s_or_b32 exec_lo, exec_lo, s20
	v_add_nc_u32_e32 v4, s17, v4
	v_lshl_add_u64 v[2:3], v[2:3], 2, s[2:3]
	s_delay_alu instid0(VALU_DEP_2)
	v_cmp_le_i32_e32 vcc_lo, s11, v4
	s_wait_loadcnt 0x0
	global_store_b32 v[2:3], v0, off
	s_or_b32 s19, vcc_lo, s19
	s_wait_xcnt 0x0
	s_and_not1_b32 exec_lo, exec_lo, s19
	s_cbranch_execz .LBB4_13
.LBB4_11:                               ; =>This Inner Loop Header: Depth=1
	v_sub_nc_u32_e32 v0, 0, v4
	s_delay_alu instid0(VALU_DEP_1) | instskip(NEXT) | instid1(VALU_DEP_1)
	v_max_i32_e32 v0, v4, v0
	v_mul_u64_e32 v[2:3], s[0:1], v[0:1]
	s_delay_alu instid0(VALU_DEP_1) | instskip(NEXT) | instid1(VALU_DEP_1)
	v_mul_lo_u32 v2, v3, s14
	v_dual_sub_nc_u32 v0, v0, v2 :: v_dual_add_nc_u32 v2, 1, v3
	s_delay_alu instid0(VALU_DEP_1) | instskip(NEXT) | instid1(VALU_DEP_2)
	v_cmp_le_u32_e32 vcc_lo, s14, v0
	v_dual_cndmask_b32 v2, v3, v2 :: v_dual_ashrrev_i32 v3, 31, v4
	v_subrev_nc_u32_e32 v5, s14, v0
	s_delay_alu instid0(VALU_DEP_1) | instskip(NEXT) | instid1(VALU_DEP_1)
	v_dual_cndmask_b32 v0, v0, v5 :: v_dual_add_nc_u32 v5, 1, v2
	v_cmp_le_u32_e32 vcc_lo, s14, v0
	s_delay_alu instid0(VALU_DEP_2) | instskip(NEXT) | instid1(VALU_DEP_1)
	v_dual_cndmask_b32 v0, v2, v5, vcc_lo :: v_dual_bitop2_b32 v6, s16, v3 bitop3:0x14
	v_xor_b32_e32 v5, v0, v6
	s_delay_alu instid0(VALU_DEP_1) | instskip(NEXT) | instid1(VALU_DEP_1)
	v_sub_nc_u32_e32 v7, v5, v6
	v_dual_sub_nc_u32 v0, 0, v7 :: v_dual_ashrrev_i32 v8, 31, v7
	s_delay_alu instid0(VALU_DEP_1) | instskip(NEXT) | instid1(VALU_DEP_1)
	v_max_i32_e32 v0, v7, v0
	v_mul_u64_e32 v[2:3], s[6:7], v[0:1]
	s_delay_alu instid0(VALU_DEP_1) | instskip(NEXT) | instid1(VALU_DEP_1)
	v_mul_lo_u32 v2, v3, s4
	v_sub_nc_u32_e32 v0, v0, v2
	s_delay_alu instid0(VALU_DEP_1) | instskip(SKIP_1) | instid1(VALU_DEP_2)
	v_subrev_nc_u32_e32 v2, s4, v0
	v_cmp_le_u32_e32 vcc_lo, s4, v0
	v_cndmask_b32_e32 v0, v0, v2, vcc_lo
	s_delay_alu instid0(VALU_DEP_1) | instskip(SKIP_1) | instid1(VALU_DEP_2)
	v_subrev_nc_u32_e32 v2, s4, v0
	v_cmp_le_u32_e32 vcc_lo, s4, v0
	v_cndmask_b32_e32 v0, v0, v2, vcc_lo
	s_delay_alu instid0(VALU_DEP_1) | instskip(NEXT) | instid1(VALU_DEP_1)
	v_xor_b32_e32 v9, v0, v8
	v_add_nc_u32_e32 v0, v9, v6
	s_delay_alu instid0(VALU_DEP_1) | instskip(NEXT) | instid1(VALU_DEP_1)
	v_sub_nc_u32_e32 v0, v0, v5
	v_sub_nc_u32_e32 v0, v0, v8
	s_delay_alu instid0(VALU_DEP_1) | instskip(NEXT) | instid1(VALU_DEP_1)
	v_mad_u32 v0, s5, v0, v4
	v_sub_nc_u32_e32 v5, v4, v0
	s_delay_alu instid0(VALU_DEP_1) | instskip(NEXT) | instid1(VALU_DEP_1)
	v_sub_nc_u32_e32 v0, 0, v5
	v_max_i32_e32 v0, v5, v0
	s_delay_alu instid0(VALU_DEP_1) | instskip(NEXT) | instid1(VALU_DEP_1)
	v_mul_u64_e32 v[2:3], s[12:13], v[0:1]
	v_mul_lo_u32 v2, v3, s15
	v_ashrrev_i32_e32 v3, 31, v5
	v_mad_u32 v5, s18, v7, v4
	s_delay_alu instid0(VALU_DEP_3) | instskip(NEXT) | instid1(VALU_DEP_1)
	v_sub_nc_u32_e32 v0, v0, v2
	v_subrev_nc_u32_e32 v2, s15, v0
	v_cmp_le_u32_e32 vcc_lo, s15, v0
	s_delay_alu instid0(VALU_DEP_2) | instskip(NEXT) | instid1(VALU_DEP_1)
	v_cndmask_b32_e32 v0, v0, v2, vcc_lo
	v_subrev_nc_u32_e32 v2, s15, v0
	v_cmp_le_u32_e32 vcc_lo, s15, v0
	s_delay_alu instid0(VALU_DEP_2) | instskip(NEXT) | instid1(VALU_DEP_1)
	v_cndmask_b32_e32 v0, v0, v2, vcc_lo
	v_xor_b32_e32 v0, v0, v3
	s_delay_alu instid0(VALU_DEP_1) | instskip(SKIP_1) | instid1(VALU_DEP_2)
	v_sub_nc_u32_e32 v0, v3, v0
	v_sub_nc_u32_e32 v3, v9, v8
	v_dual_add_nc_u32 v2, v4, v0 :: v_dual_mov_b32 v0, s10
	s_delay_alu instid0(VALU_DEP_2) | instskip(NEXT) | instid1(VALU_DEP_2)
	v_cmp_lt_i32_e32 vcc_lo, v5, v3
	v_ashrrev_i32_e32 v3, 31, v2
	s_and_saveexec_b32 s20, vcc_lo
	s_cbranch_execz .LBB4_10
; %bb.12:                               ;   in Loop: Header=BB4_11 Depth=1
	s_delay_alu instid0(VALU_DEP_1)
	v_lshl_add_u64 v[6:7], v[2:3], 2, s[8:9]
	global_load_b32 v0, v[6:7], off
	s_branch .LBB4_10
.LBB4_13:
	s_endpgm
	.section	.rodata,"a",@progbits
	.p2align	6, 0x0
	.amdhsa_kernel _Z19upperDiagMaskKernelIiEviiiPKT_S0_PS0_
		.amdhsa_group_segment_fixed_size 0
		.amdhsa_private_segment_fixed_size 0
		.amdhsa_kernarg_size 296
		.amdhsa_user_sgpr_count 2
		.amdhsa_user_sgpr_dispatch_ptr 0
		.amdhsa_user_sgpr_queue_ptr 0
		.amdhsa_user_sgpr_kernarg_segment_ptr 1
		.amdhsa_user_sgpr_dispatch_id 0
		.amdhsa_user_sgpr_kernarg_preload_length 0
		.amdhsa_user_sgpr_kernarg_preload_offset 0
		.amdhsa_user_sgpr_private_segment_size 0
		.amdhsa_wavefront_size32 1
		.amdhsa_uses_dynamic_stack 0
		.amdhsa_enable_private_segment 0
		.amdhsa_system_sgpr_workgroup_id_x 1
		.amdhsa_system_sgpr_workgroup_id_y 0
		.amdhsa_system_sgpr_workgroup_id_z 0
		.amdhsa_system_sgpr_workgroup_info 0
		.amdhsa_system_vgpr_workitem_id 0
		.amdhsa_next_free_vgpr 10
		.amdhsa_next_free_sgpr 21
		.amdhsa_named_barrier_count 0
		.amdhsa_reserve_vcc 1
		.amdhsa_float_round_mode_32 0
		.amdhsa_float_round_mode_16_64 0
		.amdhsa_float_denorm_mode_32 3
		.amdhsa_float_denorm_mode_16_64 3
		.amdhsa_fp16_overflow 0
		.amdhsa_memory_ordered 1
		.amdhsa_forward_progress 1
		.amdhsa_inst_pref_size 9
		.amdhsa_round_robin_scheduling 0
		.amdhsa_exception_fp_ieee_invalid_op 0
		.amdhsa_exception_fp_denorm_src 0
		.amdhsa_exception_fp_ieee_div_zero 0
		.amdhsa_exception_fp_ieee_overflow 0
		.amdhsa_exception_fp_ieee_underflow 0
		.amdhsa_exception_fp_ieee_inexact 0
		.amdhsa_exception_int_div_zero 0
	.end_amdhsa_kernel
	.section	.text._Z19upperDiagMaskKernelIiEviiiPKT_S0_PS0_,"axG",@progbits,_Z19upperDiagMaskKernelIiEviiiPKT_S0_PS0_,comdat
.Lfunc_end4:
	.size	_Z19upperDiagMaskKernelIiEviiiPKT_S0_PS0_, .Lfunc_end4-_Z19upperDiagMaskKernelIiEviiiPKT_S0_PS0_
                                        ; -- End function
	.set _Z19upperDiagMaskKernelIiEviiiPKT_S0_PS0_.num_vgpr, 10
	.set _Z19upperDiagMaskKernelIiEviiiPKT_S0_PS0_.num_agpr, 0
	.set _Z19upperDiagMaskKernelIiEviiiPKT_S0_PS0_.numbered_sgpr, 21
	.set _Z19upperDiagMaskKernelIiEviiiPKT_S0_PS0_.num_named_barrier, 0
	.set _Z19upperDiagMaskKernelIiEviiiPKT_S0_PS0_.private_seg_size, 0
	.set _Z19upperDiagMaskKernelIiEviiiPKT_S0_PS0_.uses_vcc, 1
	.set _Z19upperDiagMaskKernelIiEviiiPKT_S0_PS0_.uses_flat_scratch, 0
	.set _Z19upperDiagMaskKernelIiEviiiPKT_S0_PS0_.has_dyn_sized_stack, 0
	.set _Z19upperDiagMaskKernelIiEviiiPKT_S0_PS0_.has_recursion, 0
	.set _Z19upperDiagMaskKernelIiEviiiPKT_S0_PS0_.has_indirect_call, 0
	.section	.AMDGPU.csdata,"",@progbits
; Kernel info:
; codeLenInByte = 1120
; TotalNumSgprs: 23
; NumVgprs: 10
; ScratchSize: 0
; MemoryBound: 0
; FloatMode: 240
; IeeeMode: 1
; LDSByteSize: 0 bytes/workgroup (compile time only)
; SGPRBlocks: 0
; VGPRBlocks: 0
; NumSGPRsForWavesPerEU: 23
; NumVGPRsForWavesPerEU: 10
; NamedBarCnt: 0
; Occupancy: 16
; WaveLimiterHint : 0
; COMPUTE_PGM_RSRC2:SCRATCH_EN: 0
; COMPUTE_PGM_RSRC2:USER_SGPR: 2
; COMPUTE_PGM_RSRC2:TRAP_HANDLER: 0
; COMPUTE_PGM_RSRC2:TGID_X_EN: 1
; COMPUTE_PGM_RSRC2:TGID_Y_EN: 0
; COMPUTE_PGM_RSRC2:TGID_Z_EN: 0
; COMPUTE_PGM_RSRC2:TIDIG_COMP_CNT: 0
	.section	.text._Z19lowerDiagMaskKernelIiEviiiPKT_S0_PS0_,"axG",@progbits,_Z19lowerDiagMaskKernelIiEviiiPKT_S0_PS0_,comdat
	.protected	_Z19lowerDiagMaskKernelIiEviiiPKT_S0_PS0_ ; -- Begin function _Z19lowerDiagMaskKernelIiEviiiPKT_S0_PS0_
	.globl	_Z19lowerDiagMaskKernelIiEviiiPKT_S0_PS0_
	.p2align	8
	.type	_Z19lowerDiagMaskKernelIiEviiiPKT_S0_PS0_,@function
_Z19lowerDiagMaskKernelIiEviiiPKT_S0_PS0_: ; @_Z19lowerDiagMaskKernelIiEviiiPKT_S0_PS0_
; %bb.0:
	s_clause 0x2
	s_load_b32 s7, s[0:1], 0x34
	s_load_b64 s[2:3], s[0:1], 0x20
	s_load_b96 s[4:6], s[0:1], 0x0
	s_bfe_u32 s12, ttmp6, 0x4000c
	s_load_b96 s[8:10], s[0:1], 0x10
	s_add_co_i32 s12, s12, 1
	s_and_b32 s11, ttmp6, 15
	s_mul_i32 s12, ttmp9, s12
	s_getreg_b32 s13, hwreg(HW_REG_IB_STS2, 6, 4)
	s_add_co_i32 s11, s11, s12
	s_wait_xcnt 0x0
	s_add_nc_u64 s[0:1], s[0:1], 40
	s_wait_kmcnt 0x0
	s_and_b32 s7, s7, 0xffff
	s_cmp_eq_u32 s13, 0
	s_mul_i32 s15, s5, s4
	s_cselect_b32 s11, ttmp9, s11
	s_cmp_lt_i32 s6, 0
	v_mad_u32 v4, s11, s7, v0
	s_mov_b32 s11, -1
	s_cbranch_scc0 .LBB5_7
; %bb.1:
	s_mov_b32 s11, exec_lo
	s_delay_alu instid0(VALU_DEP_1)
	v_cmpx_gt_i32_e64 s15, v4
	s_cbranch_execz .LBB5_6
; %bb.2:
	s_abs_i32 s14, s5
	s_load_b32 s18, s[0:1], 0x0
	s_cvt_f32_u32 s12, s14
	s_sub_co_i32 s19, 0, s14
	v_dual_mov_b32 v1, 0 :: v_dual_mov_b32 v2, v4
	s_delay_alu instid0(SALU_CYCLE_1) | instskip(SKIP_4) | instid1(TRANS32_DEP_1)
	v_rcp_iflag_f32_e32 v0, s12
	s_mov_b32 s13, 0
	s_ashr_i32 s16, s5, 31
	s_sub_co_i32 s17, 0, s5
	v_nop
	v_readfirstlane_b32 s12, v0
	s_mul_f32 s12, s12, 0x4f7ffffe
	s_wait_kmcnt 0x0
	s_mul_i32 s18, s18, s7
	s_delay_alu instid0(SALU_CYCLE_1) | instskip(NEXT) | instid1(SALU_CYCLE_3)
	s_cvt_u32_f32 s12, s12
	s_mul_i32 s19, s19, s12
	s_delay_alu instid0(SALU_CYCLE_1) | instskip(NEXT) | instid1(SALU_CYCLE_1)
	s_mul_hi_u32 s19, s12, s19
	s_add_co_i32 s12, s12, s19
	s_mov_b32 s19, s13
	s_branch .LBB5_4
.LBB5_3:                                ;   in Loop: Header=BB5_4 Depth=1
	s_wait_xcnt 0x0
	s_or_b32 exec_lo, exec_lo, s20
	v_lshl_add_u64 v[6:7], v[2:3], 2, s[2:3]
	v_add_nc_u32_e32 v2, s18, v2
	s_wait_loadcnt 0x0
	global_store_b32 v[6:7], v0, off
	v_cmp_le_i32_e32 vcc_lo, s15, v2
	s_or_b32 s19, vcc_lo, s19
	s_wait_xcnt 0x0
	s_and_not1_b32 exec_lo, exec_lo, s19
	s_cbranch_execz .LBB5_6
.LBB5_4:                                ; =>This Inner Loop Header: Depth=1
	v_sub_nc_u32_e32 v0, 0, v2
	s_delay_alu instid0(VALU_DEP_1) | instskip(NEXT) | instid1(VALU_DEP_1)
	v_max_i32_e32 v0, v2, v0
	v_mul_u64_e32 v[6:7], s[12:13], v[0:1]
	s_delay_alu instid0(VALU_DEP_1) | instskip(NEXT) | instid1(VALU_DEP_1)
	v_mul_lo_u32 v3, v7, s14
	v_sub_nc_u32_e32 v0, v0, v3
	v_add_nc_u32_e32 v3, 1, v7
	s_delay_alu instid0(VALU_DEP_2) | instskip(NEXT) | instid1(VALU_DEP_2)
	v_cmp_le_u32_e32 vcc_lo, s14, v0
	v_dual_cndmask_b32 v6, v7, v3 :: v_dual_ashrrev_i32 v3, 31, v2
	v_subrev_nc_u32_e32 v5, s14, v0
	s_delay_alu instid0(VALU_DEP_1) | instskip(NEXT) | instid1(VALU_DEP_1)
	v_dual_cndmask_b32 v0, v0, v5 :: v_dual_add_nc_u32 v5, 1, v6
	v_cmp_le_u32_e32 vcc_lo, s14, v0
	s_delay_alu instid0(VALU_DEP_2) | instskip(NEXT) | instid1(VALU_DEP_1)
	v_dual_cndmask_b32 v0, v6, v5, vcc_lo :: v_dual_bitop2_b32 v7, s16, v3 bitop3:0x14
	v_xor_b32_e32 v0, v0, v7
	s_delay_alu instid0(VALU_DEP_1) | instskip(NEXT) | instid1(VALU_DEP_1)
	v_sub_nc_u32_e32 v0, v0, v7
	v_mad_u32 v5, s17, v0, v2
	s_delay_alu instid0(VALU_DEP_1)
	v_cmp_gt_i32_e32 vcc_lo, v5, v0
	v_mov_b32_e32 v0, s10
	s_and_saveexec_b32 s20, vcc_lo
	s_cbranch_execz .LBB5_3
; %bb.5:                                ;   in Loop: Header=BB5_4 Depth=1
	v_lshl_add_u64 v[6:7], v[2:3], 2, s[8:9]
	global_load_b32 v0, v[6:7], off
	s_branch .LBB5_3
.LBB5_6:
	s_or_b32 exec_lo, exec_lo, s11
	s_mov_b32 s11, 0
.LBB5_7:
	s_delay_alu instid0(SALU_CYCLE_1)
	s_and_not1_b32 vcc_lo, exec_lo, s11
	s_cbranch_vccnz .LBB5_13
; %bb.8:
	s_mul_i32 s11, s15, s6
	s_mov_b32 s6, exec_lo
	s_delay_alu instid0(VALU_DEP_1)
	v_cmpx_gt_i32_e64 s11, v4
	s_cbranch_execz .LBB5_13
; %bb.9:
	s_abs_i32 s14, s5
	s_abs_i32 s4, s4
	s_cvt_f32_u32 s6, s14
	s_abs_i32 s15, s15
	s_cvt_f32_u32 s12, s4
	s_cvt_f32_u32 s13, s15
	v_rcp_iflag_f32_e32 v0, s6
	s_load_b32 s17, s[0:1], 0x0
	v_rcp_iflag_f32_e32 v1, s12
	v_rcp_iflag_f32_e32 v2, s13
	s_sub_co_i32 s13, 0, s14
	s_sub_co_i32 s18, 0, s4
	;; [unrolled: 1-line block ×3, first 2 shown]
	s_wait_xcnt 0x0
	v_readfirstlane_b32 s0, v0
	s_mov_b32 s1, 0
	v_readfirstlane_b32 s6, v1
	v_readfirstlane_b32 s12, v2
	v_mov_b32_e32 v1, 0
	s_mul_f32 s0, s0, 0x4f7ffffe
	s_ashr_i32 s16, s5, 31
	s_mul_f32 s6, s6, 0x4f7ffffe
	s_mul_f32 s12, s12, 0x4f7ffffe
	s_cvt_u32_f32 s0, s0
	s_delay_alu instid0(SALU_CYCLE_1) | instskip(NEXT) | instid1(SALU_CYCLE_1)
	s_cvt_u32_f32 s6, s6
	s_cvt_u32_f32 s12, s12
	s_delay_alu instid0(SALU_CYCLE_1)
	s_mul_i32 s13, s13, s0
	s_wait_kmcnt 0x0
	s_mul_i32 s17, s17, s7
	s_mul_i32 s18, s18, s6
	;; [unrolled: 1-line block ×3, first 2 shown]
	s_mul_hi_u32 s7, s0, s13
	s_mul_hi_u32 s13, s6, s18
	s_add_co_i32 s0, s0, s7
	s_add_co_i32 s6, s6, s13
	s_mul_hi_u32 s13, s12, s19
	s_mov_b32 s7, s1
	s_add_co_i32 s12, s12, s13
	s_mov_b32 s13, s1
	s_sub_co_i32 s18, 0, s5
	s_mov_b32 s19, s1
	s_branch .LBB5_11
.LBB5_10:                               ;   in Loop: Header=BB5_11 Depth=1
	s_wait_xcnt 0x0
	s_or_b32 exec_lo, exec_lo, s20
	v_add_nc_u32_e32 v4, s17, v4
	v_lshl_add_u64 v[2:3], v[2:3], 2, s[2:3]
	s_delay_alu instid0(VALU_DEP_2)
	v_cmp_le_i32_e32 vcc_lo, s11, v4
	s_wait_loadcnt 0x0
	global_store_b32 v[2:3], v0, off
	s_or_b32 s19, vcc_lo, s19
	s_wait_xcnt 0x0
	s_and_not1_b32 exec_lo, exec_lo, s19
	s_cbranch_execz .LBB5_13
.LBB5_11:                               ; =>This Inner Loop Header: Depth=1
	v_sub_nc_u32_e32 v0, 0, v4
	s_delay_alu instid0(VALU_DEP_1) | instskip(NEXT) | instid1(VALU_DEP_1)
	v_max_i32_e32 v0, v4, v0
	v_mul_u64_e32 v[2:3], s[0:1], v[0:1]
	s_delay_alu instid0(VALU_DEP_1) | instskip(NEXT) | instid1(VALU_DEP_1)
	v_mul_lo_u32 v2, v3, s14
	v_dual_sub_nc_u32 v0, v0, v2 :: v_dual_add_nc_u32 v2, 1, v3
	s_delay_alu instid0(VALU_DEP_1) | instskip(NEXT) | instid1(VALU_DEP_2)
	v_cmp_le_u32_e32 vcc_lo, s14, v0
	v_dual_cndmask_b32 v2, v3, v2 :: v_dual_ashrrev_i32 v3, 31, v4
	v_subrev_nc_u32_e32 v5, s14, v0
	s_delay_alu instid0(VALU_DEP_1) | instskip(NEXT) | instid1(VALU_DEP_1)
	v_dual_cndmask_b32 v0, v0, v5 :: v_dual_add_nc_u32 v5, 1, v2
	v_cmp_le_u32_e32 vcc_lo, s14, v0
	s_delay_alu instid0(VALU_DEP_2) | instskip(NEXT) | instid1(VALU_DEP_1)
	v_dual_cndmask_b32 v0, v2, v5, vcc_lo :: v_dual_bitop2_b32 v6, s16, v3 bitop3:0x14
	v_xor_b32_e32 v5, v0, v6
	s_delay_alu instid0(VALU_DEP_1) | instskip(NEXT) | instid1(VALU_DEP_1)
	v_sub_nc_u32_e32 v7, v5, v6
	v_dual_sub_nc_u32 v0, 0, v7 :: v_dual_ashrrev_i32 v8, 31, v7
	s_delay_alu instid0(VALU_DEP_1) | instskip(NEXT) | instid1(VALU_DEP_1)
	v_max_i32_e32 v0, v7, v0
	v_mul_u64_e32 v[2:3], s[6:7], v[0:1]
	s_delay_alu instid0(VALU_DEP_1) | instskip(NEXT) | instid1(VALU_DEP_1)
	v_mul_lo_u32 v2, v3, s4
	v_sub_nc_u32_e32 v0, v0, v2
	s_delay_alu instid0(VALU_DEP_1) | instskip(SKIP_1) | instid1(VALU_DEP_2)
	v_subrev_nc_u32_e32 v2, s4, v0
	v_cmp_le_u32_e32 vcc_lo, s4, v0
	v_cndmask_b32_e32 v0, v0, v2, vcc_lo
	s_delay_alu instid0(VALU_DEP_1) | instskip(SKIP_1) | instid1(VALU_DEP_2)
	v_subrev_nc_u32_e32 v2, s4, v0
	v_cmp_le_u32_e32 vcc_lo, s4, v0
	v_cndmask_b32_e32 v0, v0, v2, vcc_lo
	s_delay_alu instid0(VALU_DEP_1) | instskip(NEXT) | instid1(VALU_DEP_1)
	v_xor_b32_e32 v9, v0, v8
	v_add_nc_u32_e32 v0, v9, v6
	s_delay_alu instid0(VALU_DEP_1) | instskip(NEXT) | instid1(VALU_DEP_1)
	v_sub_nc_u32_e32 v0, v0, v5
	v_sub_nc_u32_e32 v0, v0, v8
	s_delay_alu instid0(VALU_DEP_1) | instskip(NEXT) | instid1(VALU_DEP_1)
	v_mad_u32 v0, s5, v0, v4
	v_sub_nc_u32_e32 v5, v4, v0
	s_delay_alu instid0(VALU_DEP_1) | instskip(NEXT) | instid1(VALU_DEP_1)
	v_sub_nc_u32_e32 v0, 0, v5
	v_max_i32_e32 v0, v5, v0
	s_delay_alu instid0(VALU_DEP_1) | instskip(NEXT) | instid1(VALU_DEP_1)
	v_mul_u64_e32 v[2:3], s[12:13], v[0:1]
	v_mul_lo_u32 v2, v3, s15
	v_ashrrev_i32_e32 v3, 31, v5
	v_mad_u32 v5, s18, v7, v4
	s_delay_alu instid0(VALU_DEP_3) | instskip(NEXT) | instid1(VALU_DEP_1)
	v_sub_nc_u32_e32 v0, v0, v2
	v_subrev_nc_u32_e32 v2, s15, v0
	v_cmp_le_u32_e32 vcc_lo, s15, v0
	s_delay_alu instid0(VALU_DEP_2) | instskip(NEXT) | instid1(VALU_DEP_1)
	v_cndmask_b32_e32 v0, v0, v2, vcc_lo
	v_subrev_nc_u32_e32 v2, s15, v0
	v_cmp_le_u32_e32 vcc_lo, s15, v0
	s_delay_alu instid0(VALU_DEP_2) | instskip(NEXT) | instid1(VALU_DEP_1)
	v_cndmask_b32_e32 v0, v0, v2, vcc_lo
	v_xor_b32_e32 v0, v0, v3
	s_delay_alu instid0(VALU_DEP_1) | instskip(SKIP_1) | instid1(VALU_DEP_2)
	v_sub_nc_u32_e32 v0, v3, v0
	v_sub_nc_u32_e32 v3, v9, v8
	v_dual_add_nc_u32 v2, v4, v0 :: v_dual_mov_b32 v0, s10
	s_delay_alu instid0(VALU_DEP_2) | instskip(NEXT) | instid1(VALU_DEP_2)
	v_cmp_gt_i32_e32 vcc_lo, v5, v3
	v_ashrrev_i32_e32 v3, 31, v2
	s_and_saveexec_b32 s20, vcc_lo
	s_cbranch_execz .LBB5_10
; %bb.12:                               ;   in Loop: Header=BB5_11 Depth=1
	s_delay_alu instid0(VALU_DEP_1)
	v_lshl_add_u64 v[6:7], v[2:3], 2, s[8:9]
	global_load_b32 v0, v[6:7], off
	s_branch .LBB5_10
.LBB5_13:
	s_endpgm
	.section	.rodata,"a",@progbits
	.p2align	6, 0x0
	.amdhsa_kernel _Z19lowerDiagMaskKernelIiEviiiPKT_S0_PS0_
		.amdhsa_group_segment_fixed_size 0
		.amdhsa_private_segment_fixed_size 0
		.amdhsa_kernarg_size 296
		.amdhsa_user_sgpr_count 2
		.amdhsa_user_sgpr_dispatch_ptr 0
		.amdhsa_user_sgpr_queue_ptr 0
		.amdhsa_user_sgpr_kernarg_segment_ptr 1
		.amdhsa_user_sgpr_dispatch_id 0
		.amdhsa_user_sgpr_kernarg_preload_length 0
		.amdhsa_user_sgpr_kernarg_preload_offset 0
		.amdhsa_user_sgpr_private_segment_size 0
		.amdhsa_wavefront_size32 1
		.amdhsa_uses_dynamic_stack 0
		.amdhsa_enable_private_segment 0
		.amdhsa_system_sgpr_workgroup_id_x 1
		.amdhsa_system_sgpr_workgroup_id_y 0
		.amdhsa_system_sgpr_workgroup_id_z 0
		.amdhsa_system_sgpr_workgroup_info 0
		.amdhsa_system_vgpr_workitem_id 0
		.amdhsa_next_free_vgpr 10
		.amdhsa_next_free_sgpr 21
		.amdhsa_named_barrier_count 0
		.amdhsa_reserve_vcc 1
		.amdhsa_float_round_mode_32 0
		.amdhsa_float_round_mode_16_64 0
		.amdhsa_float_denorm_mode_32 3
		.amdhsa_float_denorm_mode_16_64 3
		.amdhsa_fp16_overflow 0
		.amdhsa_memory_ordered 1
		.amdhsa_forward_progress 1
		.amdhsa_inst_pref_size 9
		.amdhsa_round_robin_scheduling 0
		.amdhsa_exception_fp_ieee_invalid_op 0
		.amdhsa_exception_fp_denorm_src 0
		.amdhsa_exception_fp_ieee_div_zero 0
		.amdhsa_exception_fp_ieee_overflow 0
		.amdhsa_exception_fp_ieee_underflow 0
		.amdhsa_exception_fp_ieee_inexact 0
		.amdhsa_exception_int_div_zero 0
	.end_amdhsa_kernel
	.section	.text._Z19lowerDiagMaskKernelIiEviiiPKT_S0_PS0_,"axG",@progbits,_Z19lowerDiagMaskKernelIiEviiiPKT_S0_PS0_,comdat
.Lfunc_end5:
	.size	_Z19lowerDiagMaskKernelIiEviiiPKT_S0_PS0_, .Lfunc_end5-_Z19lowerDiagMaskKernelIiEviiiPKT_S0_PS0_
                                        ; -- End function
	.set _Z19lowerDiagMaskKernelIiEviiiPKT_S0_PS0_.num_vgpr, 10
	.set _Z19lowerDiagMaskKernelIiEviiiPKT_S0_PS0_.num_agpr, 0
	.set _Z19lowerDiagMaskKernelIiEviiiPKT_S0_PS0_.numbered_sgpr, 21
	.set _Z19lowerDiagMaskKernelIiEviiiPKT_S0_PS0_.num_named_barrier, 0
	.set _Z19lowerDiagMaskKernelIiEviiiPKT_S0_PS0_.private_seg_size, 0
	.set _Z19lowerDiagMaskKernelIiEviiiPKT_S0_PS0_.uses_vcc, 1
	.set _Z19lowerDiagMaskKernelIiEviiiPKT_S0_PS0_.uses_flat_scratch, 0
	.set _Z19lowerDiagMaskKernelIiEviiiPKT_S0_PS0_.has_dyn_sized_stack, 0
	.set _Z19lowerDiagMaskKernelIiEviiiPKT_S0_PS0_.has_recursion, 0
	.set _Z19lowerDiagMaskKernelIiEviiiPKT_S0_PS0_.has_indirect_call, 0
	.section	.AMDGPU.csdata,"",@progbits
; Kernel info:
; codeLenInByte = 1120
; TotalNumSgprs: 23
; NumVgprs: 10
; ScratchSize: 0
; MemoryBound: 0
; FloatMode: 240
; IeeeMode: 1
; LDSByteSize: 0 bytes/workgroup (compile time only)
; SGPRBlocks: 0
; VGPRBlocks: 0
; NumSGPRsForWavesPerEU: 23
; NumVGPRsForWavesPerEU: 10
; NamedBarCnt: 0
; Occupancy: 16
; WaveLimiterHint : 0
; COMPUTE_PGM_RSRC2:SCRATCH_EN: 0
; COMPUTE_PGM_RSRC2:USER_SGPR: 2
; COMPUTE_PGM_RSRC2:TRAP_HANDLER: 0
; COMPUTE_PGM_RSRC2:TGID_X_EN: 1
; COMPUTE_PGM_RSRC2:TGID_Y_EN: 0
; COMPUTE_PGM_RSRC2:TGID_Z_EN: 0
; COMPUTE_PGM_RSRC2:TIDIG_COMP_CNT: 0
	.section	.AMDGPU.gpr_maximums,"",@progbits
	.set amdgpu.max_num_vgpr, 0
	.set amdgpu.max_num_agpr, 0
	.set amdgpu.max_num_sgpr, 0
	.section	.AMDGPU.csdata,"",@progbits
	.type	__hip_cuid_62ecc706bb44bf0d,@object ; @__hip_cuid_62ecc706bb44bf0d
	.section	.bss,"aw",@nobits
	.globl	__hip_cuid_62ecc706bb44bf0d
__hip_cuid_62ecc706bb44bf0d:
	.byte	0                               ; 0x0
	.size	__hip_cuid_62ecc706bb44bf0d, 1

	.ident	"AMD clang version 22.0.0git (https://github.com/RadeonOpenCompute/llvm-project roc-7.2.4 26084 f58b06dce1f9c15707c5f808fd002e18c2accf7e)"
	.section	".note.GNU-stack","",@progbits
	.addrsig
	.addrsig_sym __hip_cuid_62ecc706bb44bf0d
	.amdgpu_metadata
---
amdhsa.kernels:
  - .args:
      - .offset:         0
        .size:           4
        .value_kind:     by_value
      - .offset:         4
        .size:           4
        .value_kind:     by_value
      - .offset:         8
        .size:           4
        .value_kind:     by_value
      - .address_space:  global
        .offset:         16
        .size:           8
        .value_kind:     global_buffer
      - .address_space:  global
        .offset:         24
        .size:           8
        .value_kind:     global_buffer
      - .offset:         32
        .size:           4
        .value_kind:     by_value
      - .address_space:  global
        .offset:         40
        .size:           8
        .value_kind:     global_buffer
      - .offset:         48
        .size:           4
        .value_kind:     hidden_block_count_x
      - .offset:         52
        .size:           4
        .value_kind:     hidden_block_count_y
      - .offset:         56
        .size:           4
        .value_kind:     hidden_block_count_z
      - .offset:         60
        .size:           2
        .value_kind:     hidden_group_size_x
      - .offset:         62
        .size:           2
        .value_kind:     hidden_group_size_y
      - .offset:         64
        .size:           2
        .value_kind:     hidden_group_size_z
      - .offset:         66
        .size:           2
        .value_kind:     hidden_remainder_x
      - .offset:         68
        .size:           2
        .value_kind:     hidden_remainder_y
      - .offset:         70
        .size:           2
        .value_kind:     hidden_remainder_z
      - .offset:         88
        .size:           8
        .value_kind:     hidden_global_offset_x
      - .offset:         96
        .size:           8
        .value_kind:     hidden_global_offset_y
      - .offset:         104
        .size:           8
        .value_kind:     hidden_global_offset_z
      - .offset:         112
        .size:           2
        .value_kind:     hidden_grid_dims
    .group_segment_fixed_size: 0
    .kernarg_segment_align: 8
    .kernarg_segment_size: 304
    .language:       OpenCL C
    .language_version:
      - 2
      - 0
    .max_flat_workgroup_size: 1024
    .name:           _Z18sequenceMaskKernelIiEviiiPKT_PKiS0_PS0_
    .private_segment_fixed_size: 0
    .sgpr_count:     25
    .sgpr_spill_count: 0
    .symbol:         _Z18sequenceMaskKernelIiEviiiPKT_PKiS0_PS0_.kd
    .uniform_work_group_size: 1
    .uses_dynamic_stack: false
    .vgpr_count:     9
    .vgpr_spill_count: 0
    .wavefront_size: 32
  - .args:
      - .offset:         0
        .size:           4
        .value_kind:     by_value
      - .offset:         4
        .size:           4
        .value_kind:     by_value
      - .offset:         8
        .size:           4
        .value_kind:     by_value
      - .address_space:  global
        .offset:         16
        .size:           8
        .value_kind:     global_buffer
      - .address_space:  global
        .offset:         24
        .size:           8
        .value_kind:     global_buffer
      - .offset:         32
        .size:           4
        .value_kind:     by_value
      - .offset:         36
        .size:           4
        .value_kind:     by_value
      - .address_space:  global
        .offset:         40
        .size:           8
        .value_kind:     global_buffer
      - .offset:         48
        .size:           4
        .value_kind:     hidden_block_count_x
      - .offset:         52
        .size:           4
        .value_kind:     hidden_block_count_y
      - .offset:         56
        .size:           4
        .value_kind:     hidden_block_count_z
      - .offset:         60
        .size:           2
        .value_kind:     hidden_group_size_x
      - .offset:         62
        .size:           2
        .value_kind:     hidden_group_size_y
      - .offset:         64
        .size:           2
        .value_kind:     hidden_group_size_z
      - .offset:         66
        .size:           2
        .value_kind:     hidden_remainder_x
      - .offset:         68
        .size:           2
        .value_kind:     hidden_remainder_y
      - .offset:         70
        .size:           2
        .value_kind:     hidden_remainder_z
      - .offset:         88
        .size:           8
        .value_kind:     hidden_global_offset_x
      - .offset:         96
        .size:           8
        .value_kind:     hidden_global_offset_y
      - .offset:         104
        .size:           8
        .value_kind:     hidden_global_offset_z
      - .offset:         112
        .size:           2
        .value_kind:     hidden_grid_dims
    .group_segment_fixed_size: 0
    .kernarg_segment_align: 8
    .kernarg_segment_size: 304
    .language:       OpenCL C
    .language_version:
      - 2
      - 0
    .max_flat_workgroup_size: 1024
    .name:           _Z16windowMaskKernelIiEviiiPKT_PKiiS0_PS0_
    .private_segment_fixed_size: 0
    .sgpr_count:     27
    .sgpr_spill_count: 0
    .symbol:         _Z16windowMaskKernelIiEviiiPKT_PKiiS0_PS0_.kd
    .uniform_work_group_size: 1
    .uses_dynamic_stack: false
    .vgpr_count:     9
    .vgpr_spill_count: 0
    .wavefront_size: 32
  - .args:
      - .offset:         0
        .size:           4
        .value_kind:     by_value
      - .offset:         4
        .size:           4
        .value_kind:     by_value
      - .offset:         8
        .size:           4
        .value_kind:     by_value
      - .address_space:  global
        .offset:         16
        .size:           8
        .value_kind:     global_buffer
      - .offset:         24
        .size:           4
        .value_kind:     by_value
      - .address_space:  global
        .offset:         32
        .size:           8
        .value_kind:     global_buffer
      - .offset:         40
        .size:           4
        .value_kind:     hidden_block_count_x
      - .offset:         44
        .size:           4
        .value_kind:     hidden_block_count_y
      - .offset:         48
        .size:           4
        .value_kind:     hidden_block_count_z
      - .offset:         52
        .size:           2
        .value_kind:     hidden_group_size_x
      - .offset:         54
        .size:           2
        .value_kind:     hidden_group_size_y
      - .offset:         56
        .size:           2
        .value_kind:     hidden_group_size_z
      - .offset:         58
        .size:           2
        .value_kind:     hidden_remainder_x
      - .offset:         60
        .size:           2
        .value_kind:     hidden_remainder_y
      - .offset:         62
        .size:           2
        .value_kind:     hidden_remainder_z
      - .offset:         80
        .size:           8
        .value_kind:     hidden_global_offset_x
      - .offset:         88
        .size:           8
        .value_kind:     hidden_global_offset_y
      - .offset:         96
        .size:           8
        .value_kind:     hidden_global_offset_z
      - .offset:         104
        .size:           2
        .value_kind:     hidden_grid_dims
    .group_segment_fixed_size: 0
    .kernarg_segment_align: 8
    .kernarg_segment_size: 296
    .language:       OpenCL C
    .language_version:
      - 2
      - 0
    .max_flat_workgroup_size: 1024
    .name:           _Z15upperMaskKernelIiEviiiPKT_S0_PS0_
    .private_segment_fixed_size: 0
    .sgpr_count:     23
    .sgpr_spill_count: 0
    .symbol:         _Z15upperMaskKernelIiEviiiPKT_S0_PS0_.kd
    .uniform_work_group_size: 1
    .uses_dynamic_stack: false
    .vgpr_count:     10
    .vgpr_spill_count: 0
    .wavefront_size: 32
  - .args:
      - .offset:         0
        .size:           4
        .value_kind:     by_value
      - .offset:         4
        .size:           4
        .value_kind:     by_value
      - .offset:         8
        .size:           4
        .value_kind:     by_value
      - .address_space:  global
        .offset:         16
        .size:           8
        .value_kind:     global_buffer
      - .offset:         24
        .size:           4
        .value_kind:     by_value
      - .address_space:  global
        .offset:         32
        .size:           8
        .value_kind:     global_buffer
      - .offset:         40
        .size:           4
        .value_kind:     hidden_block_count_x
      - .offset:         44
        .size:           4
        .value_kind:     hidden_block_count_y
      - .offset:         48
        .size:           4
        .value_kind:     hidden_block_count_z
      - .offset:         52
        .size:           2
        .value_kind:     hidden_group_size_x
      - .offset:         54
        .size:           2
        .value_kind:     hidden_group_size_y
      - .offset:         56
        .size:           2
        .value_kind:     hidden_group_size_z
      - .offset:         58
        .size:           2
        .value_kind:     hidden_remainder_x
      - .offset:         60
        .size:           2
        .value_kind:     hidden_remainder_y
      - .offset:         62
        .size:           2
        .value_kind:     hidden_remainder_z
      - .offset:         80
        .size:           8
        .value_kind:     hidden_global_offset_x
      - .offset:         88
        .size:           8
        .value_kind:     hidden_global_offset_y
      - .offset:         96
        .size:           8
        .value_kind:     hidden_global_offset_z
      - .offset:         104
        .size:           2
        .value_kind:     hidden_grid_dims
    .group_segment_fixed_size: 0
    .kernarg_segment_align: 8
    .kernarg_segment_size: 296
    .language:       OpenCL C
    .language_version:
      - 2
      - 0
    .max_flat_workgroup_size: 1024
    .name:           _Z15lowerMaskKernelIiEviiiPKT_S0_PS0_
    .private_segment_fixed_size: 0
    .sgpr_count:     23
    .sgpr_spill_count: 0
    .symbol:         _Z15lowerMaskKernelIiEviiiPKT_S0_PS0_.kd
    .uniform_work_group_size: 1
    .uses_dynamic_stack: false
    .vgpr_count:     10
    .vgpr_spill_count: 0
    .wavefront_size: 32
  - .args:
      - .offset:         0
        .size:           4
        .value_kind:     by_value
      - .offset:         4
        .size:           4
        .value_kind:     by_value
      - .offset:         8
        .size:           4
        .value_kind:     by_value
      - .address_space:  global
        .offset:         16
        .size:           8
        .value_kind:     global_buffer
      - .offset:         24
        .size:           4
        .value_kind:     by_value
      - .address_space:  global
        .offset:         32
        .size:           8
        .value_kind:     global_buffer
      - .offset:         40
        .size:           4
        .value_kind:     hidden_block_count_x
      - .offset:         44
        .size:           4
        .value_kind:     hidden_block_count_y
      - .offset:         48
        .size:           4
        .value_kind:     hidden_block_count_z
      - .offset:         52
        .size:           2
        .value_kind:     hidden_group_size_x
      - .offset:         54
        .size:           2
        .value_kind:     hidden_group_size_y
      - .offset:         56
        .size:           2
        .value_kind:     hidden_group_size_z
      - .offset:         58
        .size:           2
        .value_kind:     hidden_remainder_x
      - .offset:         60
        .size:           2
        .value_kind:     hidden_remainder_y
      - .offset:         62
        .size:           2
        .value_kind:     hidden_remainder_z
      - .offset:         80
        .size:           8
        .value_kind:     hidden_global_offset_x
      - .offset:         88
        .size:           8
        .value_kind:     hidden_global_offset_y
      - .offset:         96
        .size:           8
        .value_kind:     hidden_global_offset_z
      - .offset:         104
        .size:           2
        .value_kind:     hidden_grid_dims
    .group_segment_fixed_size: 0
    .kernarg_segment_align: 8
    .kernarg_segment_size: 296
    .language:       OpenCL C
    .language_version:
      - 2
      - 0
    .max_flat_workgroup_size: 1024
    .name:           _Z19upperDiagMaskKernelIiEviiiPKT_S0_PS0_
    .private_segment_fixed_size: 0
    .sgpr_count:     23
    .sgpr_spill_count: 0
    .symbol:         _Z19upperDiagMaskKernelIiEviiiPKT_S0_PS0_.kd
    .uniform_work_group_size: 1
    .uses_dynamic_stack: false
    .vgpr_count:     10
    .vgpr_spill_count: 0
    .wavefront_size: 32
  - .args:
      - .offset:         0
        .size:           4
        .value_kind:     by_value
      - .offset:         4
        .size:           4
        .value_kind:     by_value
      - .offset:         8
        .size:           4
        .value_kind:     by_value
      - .address_space:  global
        .offset:         16
        .size:           8
        .value_kind:     global_buffer
      - .offset:         24
        .size:           4
        .value_kind:     by_value
      - .address_space:  global
        .offset:         32
        .size:           8
        .value_kind:     global_buffer
      - .offset:         40
        .size:           4
        .value_kind:     hidden_block_count_x
      - .offset:         44
        .size:           4
        .value_kind:     hidden_block_count_y
      - .offset:         48
        .size:           4
        .value_kind:     hidden_block_count_z
      - .offset:         52
        .size:           2
        .value_kind:     hidden_group_size_x
      - .offset:         54
        .size:           2
        .value_kind:     hidden_group_size_y
      - .offset:         56
        .size:           2
        .value_kind:     hidden_group_size_z
      - .offset:         58
        .size:           2
        .value_kind:     hidden_remainder_x
      - .offset:         60
        .size:           2
        .value_kind:     hidden_remainder_y
      - .offset:         62
        .size:           2
        .value_kind:     hidden_remainder_z
      - .offset:         80
        .size:           8
        .value_kind:     hidden_global_offset_x
      - .offset:         88
        .size:           8
        .value_kind:     hidden_global_offset_y
      - .offset:         96
        .size:           8
        .value_kind:     hidden_global_offset_z
      - .offset:         104
        .size:           2
        .value_kind:     hidden_grid_dims
    .group_segment_fixed_size: 0
    .kernarg_segment_align: 8
    .kernarg_segment_size: 296
    .language:       OpenCL C
    .language_version:
      - 2
      - 0
    .max_flat_workgroup_size: 1024
    .name:           _Z19lowerDiagMaskKernelIiEviiiPKT_S0_PS0_
    .private_segment_fixed_size: 0
    .sgpr_count:     23
    .sgpr_spill_count: 0
    .symbol:         _Z19lowerDiagMaskKernelIiEviiiPKT_S0_PS0_.kd
    .uniform_work_group_size: 1
    .uses_dynamic_stack: false
    .vgpr_count:     10
    .vgpr_spill_count: 0
    .wavefront_size: 32
amdhsa.target:   amdgcn-amd-amdhsa--gfx1250
amdhsa.version:
  - 1
  - 2
...

	.end_amdgpu_metadata
